;; amdgpu-corpus repo=ROCm/rocFFT kind=compiled arch=gfx1030 opt=O3
	.text
	.amdgcn_target "amdgcn-amd-amdhsa--gfx1030"
	.amdhsa_code_object_version 6
	.protected	bluestein_single_fwd_len900_dim1_dp_op_CI_CI ; -- Begin function bluestein_single_fwd_len900_dim1_dp_op_CI_CI
	.globl	bluestein_single_fwd_len900_dim1_dp_op_CI_CI
	.p2align	8
	.type	bluestein_single_fwd_len900_dim1_dp_op_CI_CI,@function
bluestein_single_fwd_len900_dim1_dp_op_CI_CI: ; @bluestein_single_fwd_len900_dim1_dp_op_CI_CI
; %bb.0:
	s_load_dwordx4 s[12:15], s[4:5], 0x28
	v_mul_u32_u24_e32 v1, 0x2d9, v0
	v_mov_b32_e32 v189, 0
	s_mov_b32 s0, exec_lo
	v_lshrrev_b32_e32 v40, 16, v1
	v_lshl_add_u32 v188, s6, 1, v40
	s_waitcnt lgkmcnt(0)
	v_cmpx_gt_u64_e64 s[12:13], v[188:189]
	s_cbranch_execz .LBB0_18
; %bb.1:
	s_clause 0x1
	s_load_dwordx4 s[8:11], s[4:5], 0x18
	s_load_dwordx4 s[0:3], s[4:5], 0x0
	v_mul_lo_u16 v1, 0x5a, v40
	v_and_b32_e32 v122, 1, v40
	s_mov_b32 s12, 0x372fe950
	s_mov_b32 s13, 0x3fd3c6ef
	s_load_dwordx2 s[4:5], s[4:5], 0x38
	v_sub_nc_u16 v44, v0, v1
	v_and_b32_e32 v189, 0xffff, v44
	v_lshlrev_b32_e32 v121, 4, v189
	s_waitcnt lgkmcnt(0)
	s_load_dwordx4 s[16:19], s[8:9], 0x0
	s_clause 0x1
	global_load_dwordx4 v[0:3], v121, s[0:1]
	global_load_dwordx4 v[4:7], v121, s[0:1] offset:1440
	v_add_co_u32 v200, s6, s0, v121
	v_add_co_ci_u32_e64 v201, null, s1, 0, s6
	v_add_co_u32 v10, vcc_lo, 0x800, v200
	v_add_co_ci_u32_e32 v11, vcc_lo, 0, v201, vcc_lo
	v_add_co_u32 v14, vcc_lo, 0x1000, v200
	v_add_co_ci_u32_e32 v15, vcc_lo, 0, v201, vcc_lo
	v_add_co_u32 v16, vcc_lo, 0x1800, v200
	v_add_co_ci_u32_e32 v17, vcc_lo, 0, v201, vcc_lo
	s_waitcnt lgkmcnt(0)
	v_mad_u64_u32 v[8:9], null, s18, v188, 0
	v_mad_u64_u32 v[12:13], null, s16, v189, 0
	v_add_co_u32 v32, vcc_lo, 0x2000, v200
	v_add_co_ci_u32_e32 v33, vcc_lo, 0, v201, vcc_lo
	v_mad_u64_u32 v[18:19], null, s19, v188, v[9:10]
	v_mad_u64_u32 v[19:20], null, s17, v189, v[13:14]
	v_add_co_u32 v34, vcc_lo, 0x2800, v200
	v_add_co_ci_u32_e32 v35, vcc_lo, 0, v201, vcc_lo
	v_mov_b32_e32 v9, v18
	v_add_co_u32 v36, vcc_lo, 0x3000, v200
	v_mov_b32_e32 v13, v19
	v_add_co_ci_u32_e32 v37, vcc_lo, 0, v201, vcc_lo
	v_lshlrev_b64 v[18:19], 4, v[8:9]
	global_load_dwordx4 v[28:31], v[10:11], off offset:832
	v_lshlrev_b64 v[12:13], 4, v[12:13]
	s_clause 0x1
	global_load_dwordx4 v[24:27], v[14:15], off offset:224
	global_load_dwordx4 v[8:11], v[14:15], off offset:1664
	s_mul_i32 s0, s17, 0x5a0
	s_mul_hi_u32 s1, s16, 0x5a0
	v_add_co_u32 v14, vcc_lo, s14, v18
	v_add_co_ci_u32_e32 v15, vcc_lo, s15, v19, vcc_lo
	s_mul_i32 s6, s16, 0x5a0
	v_add_co_u32 v38, vcc_lo, v14, v12
	v_add_co_ci_u32_e32 v39, vcc_lo, v15, v13, vcc_lo
	s_add_i32 s1, s1, s0
	v_add_co_u32 v41, vcc_lo, v38, s6
	v_add_co_ci_u32_e32 v42, vcc_lo, s1, v39, vcc_lo
	global_load_dwordx4 v[20:23], v[16:17], off offset:1056
	v_add_co_u32 v53, vcc_lo, v41, s6
	v_add_co_ci_u32_e32 v54, vcc_lo, s1, v42, vcc_lo
	s_clause 0x1
	global_load_dwordx4 v[16:19], v[32:33], off offset:448
	global_load_dwordx4 v[12:15], v[32:33], off offset:1888
	v_add_co_u32 v32, vcc_lo, v53, s6
	v_add_co_ci_u32_e32 v33, vcc_lo, s1, v54, vcc_lo
	s_clause 0x1
	global_load_dwordx4 v[45:48], v[38:39], off
	global_load_dwordx4 v[49:52], v[41:42], off
	v_add_co_u32 v38, vcc_lo, v32, s6
	v_add_co_ci_u32_e32 v39, vcc_lo, s1, v33, vcc_lo
	global_load_dwordx4 v[57:60], v[32:33], off
	v_add_co_u32 v41, vcc_lo, v38, s6
	global_load_dwordx4 v[61:64], v[38:39], off
	v_add_co_ci_u32_e32 v42, vcc_lo, s1, v39, vcc_lo
	v_add_co_u32 v32, vcc_lo, v41, s6
	global_load_dwordx4 v[53:56], v[53:54], off
	v_add_co_ci_u32_e32 v33, vcc_lo, s1, v42, vcc_lo
	v_add_co_u32 v38, vcc_lo, v32, s6
	global_load_dwordx4 v[65:68], v[41:42], off
	v_add_co_ci_u32_e32 v39, vcc_lo, s1, v33, vcc_lo
	v_add_co_u32 v41, vcc_lo, v38, s6
	global_load_dwordx4 v[69:72], v[32:33], off
	v_add_co_ci_u32_e32 v42, vcc_lo, s1, v39, vcc_lo
	v_add_co_u32 v81, vcc_lo, v41, s6
	s_mov_b32 s15, 0xbfee6f0e
	v_add_co_ci_u32_e32 v82, vcc_lo, s1, v42, vcc_lo
	global_load_dwordx4 v[73:76], v[38:39], off
	global_load_dwordx4 v[32:35], v[34:35], off offset:1280
	global_load_dwordx4 v[77:80], v[41:42], off
	global_load_dwordx4 v[36:39], v[36:37], off offset:672
	global_load_dwordx4 v[81:84], v[81:82], off
	v_cmp_eq_u32_e32 vcc_lo, 1, v122
	s_load_dwordx4 s[8:11], s[10:11], 0x0
	s_mov_b32 s0, 0x134454ff
	s_mov_b32 s1, 0x3fee6f0e
	;; [unrolled: 1-line block ×3, first 2 shown]
	v_cndmask_b32_e64 v122, 0, 0x384, vcc_lo
	s_mov_b32 s6, 0x4755a5e
	s_mov_b32 s7, 0x3fe2cf23
	s_mov_b32 s17, 0xbfe2cf23
	s_mov_b32 s16, s6
	v_lshlrev_b32_e32 v198, 4, v122
	s_mov_b32 s18, 0x9b97f4a8
	s_mov_b32 s19, 0x3fe9e377
	v_cmp_gt_u16_e32 vcc_lo, 30, v44
	v_add_nc_u32_e32 v197, v198, v121
	s_waitcnt vmcnt(11)
	v_mul_f64 v[40:41], v[47:48], v[2:3]
	v_mul_f64 v[42:43], v[45:46], v[2:3]
	s_waitcnt vmcnt(10)
	v_mul_f64 v[85:86], v[51:52], v[6:7]
	v_mul_f64 v[87:88], v[49:50], v[6:7]
	;; [unrolled: 3-line block ×6, first 2 shown]
	v_fma_f64 v[40:41], v[45:46], v[0:1], v[40:41]
	v_fma_f64 v[42:43], v[47:48], v[0:1], -v[42:43]
	s_waitcnt vmcnt(5)
	v_mul_f64 v[105:106], v[71:72], v[18:19]
	v_mul_f64 v[107:108], v[69:70], v[18:19]
	v_fma_f64 v[45:46], v[49:50], v[4:5], v[85:86]
	v_fma_f64 v[47:48], v[51:52], v[4:5], -v[87:88]
	s_waitcnt vmcnt(4)
	v_mul_f64 v[109:110], v[75:76], v[14:15]
	v_mul_f64 v[111:112], v[73:74], v[14:15]
	s_waitcnt vmcnt(2)
	v_mul_f64 v[113:114], v[79:80], v[34:35]
	v_mul_f64 v[115:116], v[77:78], v[34:35]
	;; [unrolled: 3-line block ×3, first 2 shown]
	v_fma_f64 v[49:50], v[53:54], v[28:29], v[89:90]
	v_fma_f64 v[51:52], v[55:56], v[28:29], -v[91:92]
	v_fma_f64 v[53:54], v[57:58], v[24:25], v[93:94]
	v_fma_f64 v[55:56], v[59:60], v[24:25], -v[95:96]
	;; [unrolled: 2-line block ×4, first 2 shown]
	v_and_b32_e32 v89, 0xff, v44
	v_fma_f64 v[65:66], v[69:70], v[16:17], v[105:106]
	v_fma_f64 v[67:68], v[71:72], v[16:17], -v[107:108]
	v_mul_lo_u16 v149, 0xcd, v89
	v_fma_f64 v[69:70], v[73:74], v[12:13], v[109:110]
	v_fma_f64 v[71:72], v[75:76], v[12:13], -v[111:112]
	v_fma_f64 v[73:74], v[77:78], v[32:33], v[113:114]
	v_fma_f64 v[75:76], v[79:80], v[32:33], -v[115:116]
	;; [unrolled: 2-line block ×3, first 2 shown]
	ds_write_b128 v197, v[40:43]
	ds_write_b128 v197, v[45:48] offset:1440
	ds_write_b128 v197, v[49:52] offset:2880
	;; [unrolled: 1-line block ×9, first 2 shown]
	s_waitcnt lgkmcnt(0)
	s_barrier
	buffer_gl0_inv
	ds_read_b128 v[40:43], v197 offset:7200
	ds_read_b128 v[45:48], v197 offset:10080
	;; [unrolled: 1-line block ×6, first 2 shown]
	ds_read_b128 v[65:68], v197
	ds_read_b128 v[69:72], v197 offset:8640
	ds_read_b128 v[73:76], v197 offset:11520
	;; [unrolled: 1-line block ×3, first 2 shown]
	s_waitcnt lgkmcnt(0)
	s_barrier
	buffer_gl0_inv
	v_add_f64 v[97:98], v[57:58], -v[61:62]
	v_add_f64 v[81:82], v[40:41], v[45:46]
	v_add_f64 v[83:84], v[55:56], v[51:52]
	;; [unrolled: 1-line block ×4, first 2 shown]
	v_add_f64 v[99:100], v[55:56], -v[51:52]
	v_add_f64 v[103:104], v[40:41], -v[45:46]
	;; [unrolled: 1-line block ×4, first 2 shown]
	v_add_f64 v[89:90], v[65:66], v[57:58]
	v_add_f64 v[91:92], v[61:62], v[69:70]
	;; [unrolled: 1-line block ×5, first 2 shown]
	v_add_f64 v[121:122], v[53:54], -v[40:41]
	v_add_f64 v[123:124], v[49:50], -v[45:46]
	;; [unrolled: 1-line block ×6, first 2 shown]
	v_add_f64 v[115:116], v[67:68], v[59:60]
	v_add_f64 v[93:94], v[59:60], -v[75:76]
	v_add_f64 v[95:96], v[63:64], -v[71:72]
	v_fma_f64 v[81:82], v[81:82], -0.5, v[77:78]
	v_fma_f64 v[83:84], v[83:84], -0.5, v[79:80]
	;; [unrolled: 1-line block ×4, first 2 shown]
	v_add_f64 v[77:78], v[77:78], v[53:54]
	v_add_f64 v[53:54], v[40:41], -v[53:54]
	v_add_f64 v[79:80], v[79:80], v[55:56]
	v_add_f64 v[55:56], v[55:56], -v[42:43]
	v_add_f64 v[105:106], v[73:74], -v[69:70]
	;; [unrolled: 1-line block ×6, first 2 shown]
	v_fma_f64 v[91:92], v[91:92], -0.5, v[65:66]
	v_fma_f64 v[65:66], v[107:108], -0.5, v[65:66]
	;; [unrolled: 1-line block ×4, first 2 shown]
	v_add_f64 v[61:62], v[89:90], v[61:62]
	v_add_f64 v[89:90], v[121:122], v[123:124]
	v_add_f64 v[117:118], v[127:128], v[129:130]
	v_add_f64 v[143:144], v[59:60], -v[63:64]
	v_add_f64 v[59:60], v[63:64], -v[59:60]
	v_fma_f64 v[131:132], v[99:100], s[0:1], v[81:82]
	v_fma_f64 v[133:134], v[103:104], s[0:1], v[83:84]
	;; [unrolled: 1-line block ×8, first 2 shown]
	v_add_f64 v[53:54], v[53:54], v[125:126]
	v_add_f64 v[55:56], v[55:56], v[137:138]
	;; [unrolled: 1-line block ×5, first 2 shown]
	v_add_f64 v[145:146], v[75:76], -v[71:72]
	v_add_f64 v[97:98], v[97:98], v[105:106]
	v_fma_f64 v[77:78], v[93:94], s[0:1], v[91:92]
	v_fma_f64 v[79:80], v[93:94], s[14:15], v[91:92]
	;; [unrolled: 1-line block ×5, first 2 shown]
	v_add_f64 v[147:148], v[71:72], -v[75:76]
	v_fma_f64 v[65:66], v[95:96], s[0:1], v[65:66]
	v_fma_f64 v[119:120], v[101:102], s[6:7], v[131:132]
	;; [unrolled: 1-line block ×8, first 2 shown]
	v_add_f64 v[101:102], v[109:110], v[113:114]
	v_fma_f64 v[109:110], v[141:142], s[0:1], v[67:68]
	v_fma_f64 v[67:68], v[141:142], s[14:15], v[67:68]
	;; [unrolled: 1-line block ×3, first 2 shown]
	v_add_f64 v[61:62], v[61:62], v[69:70]
	v_add_f64 v[63:64], v[63:64], v[71:72]
	;; [unrolled: 1-line block ×4, first 2 shown]
	v_fma_f64 v[46:47], v[95:96], s[6:7], v[77:78]
	v_fma_f64 v[69:70], v[95:96], s[16:17], v[79:80]
	;; [unrolled: 1-line block ×5, first 2 shown]
	v_add_f64 v[59:60], v[59:60], v[147:148]
	v_fma_f64 v[65:66], v[93:94], s[16:17], v[65:66]
	v_fma_f64 v[103:104], v[89:90], s[12:13], v[119:120]
	;; [unrolled: 1-line block ×8, first 2 shown]
	v_add_f64 v[89:90], v[143:144], v[145:146]
	v_fma_f64 v[91:92], v[57:58], s[16:17], v[109:110]
	v_fma_f64 v[57:58], v[57:58], s[6:7], v[67:68]
	;; [unrolled: 1-line block ×3, first 2 shown]
	v_add_f64 v[61:62], v[61:62], v[73:74]
	v_add_f64 v[63:64], v[63:64], v[75:76]
	v_add_f64 v[48:49], v[40:41], v[49:50]
	v_add_f64 v[50:51], v[42:43], v[51:52]
	v_fma_f64 v[73:74], v[97:98], s[12:13], v[46:47]
	v_fma_f64 v[69:70], v[97:98], s[12:13], v[69:70]
	;; [unrolled: 1-line block ×3, first 2 shown]
	v_lshrrev_b16 v45, 11, v149
	v_mul_lo_u16 v46, v44, 10
	v_fma_f64 v[75:76], v[101:102], s[12:13], v[65:66]
	v_mul_f64 v[67:68], v[103:104], s[18:19]
	v_mul_f64 v[87:88], v[111:112], s[0:1]
	;; [unrolled: 1-line block ×8, first 2 shown]
	v_fma_f64 v[77:78], v[89:90], s[12:13], v[77:78]
	v_fma_f64 v[89:90], v[89:90], s[12:13], v[79:80]
	;; [unrolled: 1-line block ×4, first 2 shown]
	v_mul_lo_u16 v40, v45, 10
	v_add_f64 v[42:43], v[63:64], v[50:51]
	v_fma_f64 v[67:68], v[55:56], s[6:7], v[67:68]
	v_fma_f64 v[79:80], v[53:54], s[12:13], v[87:88]
	;; [unrolled: 1-line block ×3, first 2 shown]
	v_fma_f64 v[83:84], v[83:84], s[0:1], -v[93:94]
	v_fma_f64 v[93:94], v[111:112], s[12:13], v[103:104]
	v_fma_f64 v[85:86], v[85:86], s[6:7], -v[95:96]
	v_fma_f64 v[95:96], v[113:114], s[14:15], -v[105:106]
	;; [unrolled: 1-line block ×3, first 2 shown]
	v_sub_nc_u16 v99, v44, v40
	v_add_f64 v[40:41], v[61:62], v[48:49]
	v_add_f64 v[47:48], v[61:62], -v[48:49]
	v_add_f64 v[49:50], v[63:64], -v[50:51]
	v_add_f64 v[51:52], v[73:74], v[67:68]
	v_add_f64 v[55:56], v[71:72], v[79:80]
	;; [unrolled: 1-line block ×8, first 2 shown]
	v_add_f64 v[67:68], v[73:74], -v[67:68]
	v_add_f64 v[71:72], v[71:72], -v[79:80]
	;; [unrolled: 1-line block ×8, first 2 shown]
	v_and_b32_e32 v83, 0xffff, v46
	v_and_b32_e32 v46, 0xff, v99
	v_lshl_add_u32 v204, v83, 4, v198
	v_mad_u64_u32 v[83:84], null, 0x90, v46, s[2:3]
	ds_write_b128 v204, v[40:43]
	ds_write_b128 v204, v[47:50] offset:80
	ds_write_b128 v204, v[51:54] offset:16
	;; [unrolled: 1-line block ×9, first 2 shown]
	s_waitcnt lgkmcnt(0)
	s_barrier
	buffer_gl0_inv
	s_clause 0x8
	global_load_dwordx4 v[92:95], v[83:84], off offset:32
	global_load_dwordx4 v[88:91], v[83:84], off offset:64
	;; [unrolled: 1-line block ×8, first 2 shown]
	global_load_dwordx4 v[112:115], v[83:84], off
	ds_read_b128 v[47:50], v197 offset:4320
	ds_read_b128 v[51:54], v197 offset:7200
	;; [unrolled: 1-line block ×9, first 2 shown]
	ds_read_b128 v[116:119], v197
	s_waitcnt vmcnt(0) lgkmcnt(0)
	s_barrier
	buffer_gl0_inv
	v_mul_f64 v[120:121], v[49:50], v[94:95]
	v_mul_f64 v[124:125], v[53:54], v[90:91]
	;; [unrolled: 1-line block ×18, first 2 shown]
	v_fma_f64 v[47:48], v[47:48], v[92:93], -v[120:121]
	v_fma_f64 v[51:52], v[51:52], v[88:89], -v[124:125]
	v_fma_f64 v[53:54], v[53:54], v[88:89], v[126:127]
	v_fma_f64 v[57:58], v[57:58], v[76:77], v[128:129]
	v_fma_f64 v[55:56], v[55:56], v[76:77], -v[134:135]
	v_fma_f64 v[49:50], v[49:50], v[92:93], v[122:123]
	v_fma_f64 v[61:62], v[61:62], v[40:41], v[130:131]
	v_fma_f64 v[59:60], v[59:60], v[40:41], -v[132:133]
	v_fma_f64 v[84:85], v[84:85], v[112:113], -v[152:153]
	v_fma_f64 v[86:87], v[86:87], v[112:113], v[154:155]
	v_fma_f64 v[63:64], v[63:64], v[108:109], -v[136:137]
	v_fma_f64 v[65:66], v[65:66], v[108:109], v[138:139]
	;; [unrolled: 2-line block ×3, first 2 shown]
	v_fma_f64 v[71:72], v[71:72], v[100:101], -v[144:145]
	v_fma_f64 v[80:81], v[80:81], v[96:97], -v[146:147]
	v_fma_f64 v[73:74], v[73:74], v[100:101], v[148:149]
	v_fma_f64 v[82:83], v[82:83], v[96:97], v[150:151]
	v_add_f64 v[164:165], v[47:48], -v[51:52]
	v_add_f64 v[168:169], v[51:52], -v[47:48]
	v_add_f64 v[120:121], v[53:54], v[57:58]
	v_add_f64 v[126:127], v[51:52], v[55:56]
	v_add_f64 v[138:139], v[53:54], -v[57:58]
	v_add_f64 v[122:123], v[49:50], v[61:62]
	v_add_f64 v[124:125], v[47:48], v[59:60]
	v_add_f64 v[136:137], v[49:50], -v[61:62]
	v_add_f64 v[140:141], v[47:48], -v[59:60]
	;; [unrolled: 1-line block ×6, first 2 shown]
	v_add_f64 v[128:129], v[67:68], v[71:72]
	v_add_f64 v[130:131], v[63:64], v[80:81]
	;; [unrolled: 1-line block ×4, first 2 shown]
	v_add_f64 v[174:175], v[61:62], -v[57:58]
	v_add_f64 v[176:177], v[53:54], -v[49:50]
	;; [unrolled: 1-line block ×3, first 2 shown]
	v_add_f64 v[152:153], v[116:117], v[63:64]
	v_add_f64 v[154:155], v[118:119], v[65:66]
	;; [unrolled: 1-line block ×4, first 2 shown]
	v_fma_f64 v[120:121], v[120:121], -0.5, v[86:87]
	v_fma_f64 v[126:127], v[126:127], -0.5, v[84:85]
	v_add_f64 v[144:145], v[63:64], -v[67:68]
	v_fma_f64 v[122:123], v[122:123], -0.5, v[86:87]
	v_fma_f64 v[124:125], v[124:125], -0.5, v[84:85]
	v_add_f64 v[146:147], v[80:81], -v[71:72]
	v_add_f64 v[148:149], v[67:68], -v[63:64]
	;; [unrolled: 1-line block ×9, first 2 shown]
	v_fma_f64 v[84:85], v[128:129], -0.5, v[116:117]
	v_fma_f64 v[86:87], v[130:131], -0.5, v[116:117]
	v_fma_f64 v[116:117], v[132:133], -0.5, v[118:119]
	v_fma_f64 v[118:119], v[134:135], -0.5, v[118:119]
	v_add_f64 v[128:129], v[164:165], v[166:167]
	v_add_f64 v[130:131], v[168:169], v[170:171]
	;; [unrolled: 1-line block ×4, first 2 shown]
	v_fma_f64 v[180:181], v[140:141], s[14:15], v[120:121]
	v_fma_f64 v[186:187], v[136:137], s[14:15], v[126:127]
	;; [unrolled: 1-line block ×8, first 2 shown]
	v_add_f64 v[67:68], v[152:153], v[67:68]
	v_add_f64 v[69:70], v[154:155], v[69:70]
	;; [unrolled: 1-line block ×4, first 2 shown]
	v_add_f64 v[158:159], v[82:83], -v[73:74]
	v_add_f64 v[162:163], v[73:74], -v[82:83]
	v_fma_f64 v[51:52], v[65:66], s[0:1], v[84:85]
	v_fma_f64 v[53:54], v[65:66], s[14:15], v[84:85]
	;; [unrolled: 1-line block ×12, first 2 shown]
	v_add_f64 v[136:137], v[144:145], v[146:147]
	v_add_f64 v[138:139], v[148:149], v[150:151]
	v_fma_f64 v[140:141], v[63:64], s[14:15], v[116:117]
	v_fma_f64 v[116:117], v[63:64], s[0:1], v[116:117]
	;; [unrolled: 1-line block ×4, first 2 shown]
	v_add_f64 v[67:68], v[67:68], v[71:72]
	v_add_f64 v[69:70], v[69:70], v[73:74]
	;; [unrolled: 1-line block ×4, first 2 shown]
	v_fma_f64 v[51:52], v[190:191], s[6:7], v[51:52]
	v_fma_f64 v[55:56], v[65:66], s[6:7], v[84:85]
	;; [unrolled: 1-line block ×12, first 2 shown]
	v_add_f64 v[128:129], v[156:157], v[158:159]
	v_add_f64 v[130:131], v[160:161], v[162:163]
	v_fma_f64 v[65:66], v[192:193], s[16:17], v[140:141]
	v_fma_f64 v[71:72], v[192:193], s[6:7], v[116:117]
	;; [unrolled: 1-line block ×4, first 2 shown]
	v_add_f64 v[67:68], v[67:68], v[80:81]
	v_add_f64 v[69:70], v[69:70], v[82:83]
	;; [unrolled: 1-line block ×4, first 2 shown]
	v_fma_f64 v[80:81], v[136:137], s[12:13], v[51:52]
	v_mov_b32_e32 v47, 0x64
	v_fma_f64 v[82:83], v[136:137], s[12:13], v[53:54]
	v_mul_f64 v[84:85], v[144:145], s[6:7]
	v_mul_f64 v[118:119], v[150:151], s[18:19]
	;; [unrolled: 1-line block ×8, first 2 shown]
	v_fma_f64 v[136:137], v[138:139], s[12:13], v[55:56]
	v_fma_f64 v[138:139], v[138:139], s[12:13], v[57:58]
	;; [unrolled: 1-line block ×6, first 2 shown]
	v_mul_u32_u24_sdwa v45, v45, v47 dst_sel:DWORD dst_unused:UNUSED_PAD src0_sel:WORD_0 src1_sel:DWORD
	v_add_f64 v[47:48], v[67:68], v[59:60]
	v_add_f64 v[49:50], v[69:70], v[61:62]
	v_add_f64 v[51:52], v[67:68], -v[59:60]
	v_add_f64 v[53:54], v[69:70], -v[61:62]
	v_add_nc_u32_e32 v45, v45, v46
	v_fma_f64 v[71:72], v[126:127], s[18:19], v[84:85]
	v_fma_f64 v[118:119], v[120:121], s[6:7], -v[118:119]
	v_fma_f64 v[120:121], v[144:145], s[18:19], v[132:133]
	v_fma_f64 v[73:74], v[124:125], s[12:13], v[86:87]
	v_fma_f64 v[86:87], v[122:123], s[0:1], -v[116:117]
	v_fma_f64 v[122:123], v[146:147], s[12:13], v[134:135]
	v_fma_f64 v[124:125], v[148:149], s[14:15], -v[140:141]
	v_fma_f64 v[126:127], v[150:151], s[16:17], -v[142:143]
	v_lshl_add_u32 v199, v45, 4, v198
	s_mov_b32 s0, 0
                                        ; implicit-def: $vgpr148_vgpr149
	v_mov_b32_e32 v190, s0
	v_add_f64 v[55:56], v[80:81], v[71:72]
	v_add_f64 v[67:68], v[82:83], v[118:119]
	;; [unrolled: 1-line block ×8, first 2 shown]
	v_add_f64 v[71:72], v[80:81], -v[71:72]
	v_add_f64 v[84:85], v[136:137], -v[73:74]
	;; [unrolled: 1-line block ×8, first 2 shown]
	ds_write_b128 v199, v[47:50]
	ds_write_b128 v199, v[51:54] offset:800
	ds_write_b128 v199, v[55:58] offset:160
	ds_write_b128 v199, v[59:62] offset:320
	ds_write_b128 v199, v[63:66] offset:480
	ds_write_b128 v199, v[67:70] offset:640
	ds_write_b128 v199, v[71:74] offset:960
	ds_write_b128 v199, v[84:87] offset:1120
	ds_write_b128 v199, v[116:119] offset:1280
	ds_write_b128 v199, v[80:83] offset:1440
	s_waitcnt lgkmcnt(0)
	s_barrier
	buffer_gl0_inv
	ds_read_b128 v[120:123], v197
	ds_read_b128 v[116:119], v197 offset:1440
	ds_read_b128 v[136:139], v197 offset:9600
	;; [unrolled: 1-line block ×8, first 2 shown]
                                        ; implicit-def: $vgpr152_vgpr153
	s_and_saveexec_b32 s0, vcc_lo
	s_cbranch_execz .LBB0_3
; %bb.2:
	ds_read_b128 v[80:83], v197 offset:4320
	ds_read_b128 v[148:151], v197 offset:9120
	;; [unrolled: 1-line block ×3, first 2 shown]
.LBB0_3:
	s_or_b32 exec_lo, exec_lo, s0
	v_add_co_u32 v191, s1, 0xb4, v189
	v_add_co_u32 v205, s6, 0x10e, v189
	v_mov_b32_e32 v44, 0x147b
	v_lshrrev_b16 v45, 2, v191
	v_add_co_u32 v193, s0, 0x5a, v189
	v_lshrrev_b16 v46, 2, v205
	v_add_co_ci_u32_e64 v194, null, 0, 0, s0
	v_mul_u32_u24_sdwa v45, v45, v44 dst_sel:DWORD dst_unused:UNUSED_PAD src0_sel:WORD_0 src1_sel:DWORD
	v_add_co_u32 v47, s0, v189, -10
	v_add_co_ci_u32_e64 v48, null, 0, -1, s0
	v_cmp_gt_u16_e64 s0, 10, v189
	v_lshrrev_b32_e32 v187, 17, v45
	v_mul_u32_u24_sdwa v44, v46, v44 dst_sel:DWORD dst_unused:UNUSED_PAD src0_sel:WORD_0 src1_sel:DWORD
	s_mov_b32 s12, 0xe8584caa
	s_mov_b32 s13, 0x3febb67a
	v_cndmask_b32_e64 v165, v48, v194, s0
	v_mul_lo_u16 v48, 0x64, v187
	v_lshrrev_b32_e32 v49, 17, v44
	v_lshlrev_b64 v[44:45], 5, v[189:190]
	v_cndmask_b32_e64 v164, v47, v193, s0
	s_mov_b32 s15, 0xbfebb67a
	v_sub_nc_u16 v190, v191, v48
	v_mul_lo_u16 v48, 0x64, v49
	s_mov_b32 s14, s12
	v_add_co_u32 v195, s0, s2, v44
	v_lshlrev_b16 v44, 5, v190
	v_sub_nc_u16 v208, v205, v48
	v_lshlrev_b64 v[46:47], 5, v[164:165]
	v_add_co_ci_u32_e64 v196, s0, s3, v45, s0
	v_and_b32_e32 v61, 0xffff, v44
	v_lshlrev_b16 v60, 5, v208
	s_clause 0x1
	global_load_dwordx4 v[48:51], v[195:196], off offset:1456
	global_load_dwordx4 v[56:59], v[195:196], off offset:1440
	v_add_co_u32 v52, s0, s2, v46
	v_and_b32_e32 v62, 0xffff, v60
	v_add_co_ci_u32_e64 v53, s0, s3, v47, s0
	v_add_co_u32 v60, s0, s2, v61
	v_add_co_ci_u32_e64 v61, null, s3, 0, s0
	v_add_co_u32 v68, s0, s2, v62
	v_add_co_ci_u32_e64 v69, null, s3, 0, s0
	s_clause 0x5
	global_load_dwordx4 v[44:47], v[52:53], off offset:1456
	global_load_dwordx4 v[52:55], v[52:53], off offset:1440
	;; [unrolled: 1-line block ×6, first 2 shown]
	v_cmp_lt_u16_e64 s0, 9, v189
	v_mad_u16 v187, 0x12c, v187, v190
	v_and_b32_e32 v190, 0xffff, v208
	s_waitcnt vmcnt(0) lgkmcnt(0)
	s_barrier
	v_cndmask_b32_e64 v192, 0, 0x12c, s0
	buffer_gl0_inv
	v_mul_f64 v[158:159], v[138:139], v[50:51]
	v_mul_f64 v[156:157], v[146:147], v[58:59]
	;; [unrolled: 1-line block ×16, first 2 shown]
	v_fma_f64 v[144:145], v[144:145], v[56:57], -v[156:157]
	v_fma_f64 v[136:137], v[136:137], v[48:49], -v[158:159]
	v_fma_f64 v[146:147], v[146:147], v[56:57], v[160:161]
	v_fma_f64 v[138:139], v[138:139], v[48:49], v[162:163]
	v_fma_f64 v[128:129], v[128:129], v[64:65], -v[173:174]
	v_fma_f64 v[124:125], v[124:125], v[44:45], -v[167:168]
	;; [unrolled: 1-line block ×3, first 2 shown]
	v_fma_f64 v[142:143], v[142:143], v[52:53], v[169:170]
	v_fma_f64 v[126:127], v[126:127], v[44:45], v[171:172]
	v_fma_f64 v[156:157], v[132:133], v[60:61], -v[175:176]
	v_fma_f64 v[130:131], v[130:131], v[64:65], v[177:178]
	v_fma_f64 v[158:159], v[134:135], v[60:61], v[179:180]
	v_fma_f64 v[132:133], v[148:149], v[72:73], -v[181:182]
	v_fma_f64 v[148:149], v[152:153], v[68:69], -v[183:184]
	v_fma_f64 v[134:135], v[150:151], v[72:73], v[185:186]
	v_fma_f64 v[150:151], v[154:155], v[68:69], v[202:203]
	v_add_f64 v[162:163], v[120:121], v[144:145]
	v_add_f64 v[152:153], v[144:145], v[136:137]
	v_add_f64 v[144:145], v[144:145], -v[136:137]
	v_add_f64 v[154:155], v[146:147], v[138:139]
	v_add_f64 v[171:172], v[146:147], -v[138:139]
	v_add_f64 v[146:147], v[122:123], v[146:147]
	v_add_f64 v[160:161], v[140:141], v[124:125]
	;; [unrolled: 1-line block ×7, first 2 shown]
	v_add_f64 v[142:143], v[142:143], -v[126:127]
	v_add_f64 v[173:174], v[132:133], v[148:149]
	v_add_f64 v[140:141], v[140:141], -v[124:125]
	v_add_f64 v[175:176], v[134:135], v[150:151]
	v_add_f64 v[181:182], v[86:87], v[130:131]
	;; [unrolled: 1-line block ×4, first 2 shown]
	v_add_f64 v[206:207], v[132:133], -v[148:149]
	v_fma_f64 v[152:153], v[152:153], -0.5, v[120:121]
	v_fma_f64 v[154:155], v[154:155], -0.5, v[122:123]
	v_add_f64 v[202:203], v[128:129], -v[156:157]
	v_fma_f64 v[160:161], v[160:161], -0.5, v[116:117]
	v_add_f64 v[116:117], v[162:163], v[136:137]
	v_fma_f64 v[136:137], v[165:166], -0.5, v[118:119]
	v_add_f64 v[162:163], v[84:85], v[128:129]
	v_fma_f64 v[167:168], v[167:168], -0.5, v[84:85]
	v_fma_f64 v[85:86], v[169:170], -0.5, v[86:87]
	v_add_f64 v[169:170], v[134:135], -v[150:151]
	v_fma_f64 v[173:174], v[173:174], -0.5, v[80:81]
	v_add_f64 v[165:166], v[130:131], -v[158:159]
	v_fma_f64 v[175:176], v[175:176], -0.5, v[82:83]
	v_add_f64 v[118:119], v[146:147], v[138:139]
	v_add_f64 v[138:139], v[181:182], v[158:159]
	;; [unrolled: 1-line block ×4, first 2 shown]
	v_fma_f64 v[120:121], v[171:172], s[12:13], v[152:153]
	v_fma_f64 v[122:123], v[144:145], s[14:15], v[154:155]
	v_add_f64 v[81:82], v[177:178], v[124:125]
	v_add_f64 v[83:84], v[179:180], v[126:127]
	v_fma_f64 v[124:125], v[171:172], s[14:15], v[152:153]
	v_fma_f64 v[126:127], v[144:145], s[12:13], v[154:155]
	v_add_co_ci_u32_e64 v80, null, 0, 0, s6
	v_fma_f64 v[128:129], v[142:143], s[12:13], v[160:161]
	v_fma_f64 v[132:133], v[142:143], s[14:15], v[160:161]
	v_fma_f64 v[130:131], v[140:141], s[14:15], v[136:137]
	v_fma_f64 v[134:135], v[140:141], s[12:13], v[136:137]
	v_add_f64 v[136:137], v[162:163], v[156:157]
	v_fma_f64 v[142:143], v[202:203], s[14:15], v[85:86]
	v_fma_f64 v[146:147], v[202:203], s[12:13], v[85:86]
	;; [unrolled: 1-line block ×8, first 2 shown]
	v_add_nc_u32_e32 v85, v164, v192
	v_and_b32_e32 v86, 0xffff, v187
	v_add_co_ci_u32_e64 v192, null, 0, 0, s1
	v_lshl_add_u32 v202, v85, 4, v198
	v_lshl_add_u32 v203, v86, 4, v198
	ds_write_b128 v197, v[116:119]
	ds_write_b128 v197, v[120:123] offset:1600
	ds_write_b128 v197, v[124:127] offset:3200
	ds_write_b128 v202, v[81:84]
	ds_write_b128 v202, v[128:131] offset:1600
	ds_write_b128 v202, v[132:135] offset:3200
	;; [unrolled: 3-line block ×3, first 2 shown]
	s_and_saveexec_b32 s0, vcc_lo
	s_cbranch_execz .LBB0_5
; %bb.4:
	v_lshl_add_u32 v81, v190, 4, v198
	ds_write_b128 v81, v[148:151] offset:9600
	ds_write_b128 v81, v[156:159] offset:11200
	;; [unrolled: 1-line block ×3, first 2 shown]
.LBB0_5:
	s_or_b32 exec_lo, exec_lo, s0
	s_waitcnt lgkmcnt(0)
	s_barrier
	buffer_gl0_inv
	ds_read_b128 v[144:147], v197
	ds_read_b128 v[140:143], v197 offset:1440
	ds_read_b128 v[172:175], v197 offset:9600
	;; [unrolled: 1-line block ×8, first 2 shown]
	s_and_saveexec_b32 s0, vcc_lo
	s_cbranch_execz .LBB0_7
; %bb.6:
	ds_read_b128 v[148:151], v197 offset:4320
	ds_read_b128 v[156:159], v197 offset:9120
	ds_read_b128 v[160:163], v197 offset:13920
.LBB0_7:
	s_or_b32 exec_lo, exec_lo, s0
	v_lshlrev_b64 v[81:82], 5, v[193:194]
	v_add_co_u32 v83, s0, 0x1220, v195
	v_add_co_ci_u32_e64 v84, s0, 0, v196, s0
	v_add_co_u32 v87, s0, s2, v81
	v_add_co_ci_u32_e64 v116, s0, s3, v82, s0
	;; [unrolled: 2-line block ×5, first 2 shown]
	s_clause 0x3
	global_load_dwordx4 v[116:119], v[81:82], off offset:544
	global_load_dwordx4 v[120:123], v[83:84], off offset:16
	;; [unrolled: 1-line block ×4, first 2 shown]
	v_add_co_u32 v83, s0, 0xffffffe2, v189
	v_lshlrev_b64 v[81:82], 5, v[191:192]
	v_add_co_ci_u32_e64 v84, null, 0, -1, s0
	v_add_co_u32 v85, s0, s2, v81
	v_cndmask_b32_e32 v81, v84, v80, vcc_lo
	v_cndmask_b32_e32 v80, v83, v205, vcc_lo
	v_add_co_ci_u32_e64 v86, s0, s3, v82, s0
	v_add_co_u32 v82, s0, 0x1220, v85
	v_lshlrev_b64 v[80:81], 5, v[80:81]
	v_add_co_ci_u32_e64 v83, s0, 0, v86, s0
	v_add_co_u32 v84, s0, 0x1000, v85
	v_add_co_ci_u32_e64 v85, s0, 0, v86, s0
	v_add_co_u32 v86, s0, s2, v80
	v_add_co_ci_u32_e64 v87, s0, s3, v81, s0
	global_load_dwordx4 v[132:135], v[84:85], off offset:544
	v_add_co_u32 v80, s0, 0x1000, v86
	v_add_co_ci_u32_e64 v81, s0, 0, v87, s0
	v_add_co_u32 v84, s0, 0x1220, v86
	v_add_co_ci_u32_e64 v85, s0, 0, v87, s0
	s_clause 0x2
	global_load_dwordx4 v[136:139], v[82:83], off offset:16
	global_load_dwordx4 v[80:83], v[80:81], off offset:544
	;; [unrolled: 1-line block ×3, first 2 shown]
	s_mov_b32 s0, 0xe8584caa
	s_mov_b32 s1, 0x3febb67a
	;; [unrolled: 1-line block ×4, first 2 shown]
	s_waitcnt vmcnt(7) lgkmcnt(4)
	v_mul_f64 v[191:192], v[186:187], v[118:119]
	v_mul_f64 v[193:194], v[184:185], v[118:119]
	s_waitcnt vmcnt(6)
	v_mul_f64 v[195:196], v[174:175], v[122:123]
	v_mul_f64 v[205:206], v[172:173], v[122:123]
	s_waitcnt vmcnt(5) lgkmcnt(2)
	v_mul_f64 v[207:208], v[182:183], v[126:127]
	v_mul_f64 v[209:210], v[180:181], v[126:127]
	s_waitcnt vmcnt(4)
	v_mul_f64 v[211:212], v[166:167], v[130:131]
	v_mul_f64 v[213:214], v[164:165], v[130:131]
	v_fma_f64 v[184:185], v[184:185], v[116:117], -v[191:192]
	v_fma_f64 v[186:187], v[186:187], v[116:117], v[193:194]
	v_fma_f64 v[172:173], v[172:173], v[120:121], -v[195:196]
	v_fma_f64 v[174:175], v[174:175], v[120:121], v[205:206]
	v_fma_f64 v[180:181], v[180:181], v[124:125], -v[207:208]
	v_fma_f64 v[182:183], v[182:183], v[124:125], v[209:210]
	v_fma_f64 v[191:192], v[164:165], v[128:129], -v[211:212]
	v_fma_f64 v[193:194], v[166:167], v[128:129], v[213:214]
	s_waitcnt vmcnt(3) lgkmcnt(1)
	v_mul_f64 v[215:216], v[178:179], v[134:135]
	v_mul_f64 v[217:218], v[176:177], v[134:135]
	s_waitcnt vmcnt(2) lgkmcnt(0)
	v_mul_f64 v[219:220], v[170:171], v[138:139]
	s_waitcnt vmcnt(1)
	v_mul_f64 v[223:224], v[158:159], v[82:83]
	s_waitcnt vmcnt(0)
	v_mul_f64 v[225:226], v[162:163], v[86:87]
	v_mul_f64 v[227:228], v[156:157], v[82:83]
	;; [unrolled: 1-line block ×4, first 2 shown]
	v_add_f64 v[205:206], v[182:183], v[193:194]
	v_fma_f64 v[166:167], v[176:177], v[132:133], -v[215:216]
	v_fma_f64 v[176:177], v[178:179], v[132:133], v[217:218]
	v_add_f64 v[215:216], v[144:145], v[184:185]
	v_add_f64 v[217:218], v[186:187], -v[174:175]
	v_fma_f64 v[178:179], v[168:169], v[136:137], -v[219:220]
	v_fma_f64 v[164:165], v[156:157], v[80:81], -v[223:224]
	;; [unrolled: 1-line block ×3, first 2 shown]
	v_fma_f64 v[160:161], v[158:159], v[80:81], v[227:228]
	v_fma_f64 v[158:159], v[162:163], v[84:85], v[229:230]
	v_fma_f64 v[195:196], v[170:171], v[136:137], v[221:222]
	v_add_f64 v[162:163], v[184:185], v[172:173]
	v_add_f64 v[168:169], v[186:187], v[174:175]
	v_add_f64 v[170:171], v[180:181], v[191:192]
	v_add_f64 v[186:187], v[146:147], v[186:187]
	v_add_f64 v[219:220], v[140:141], v[180:181]
	v_add_f64 v[221:222], v[142:143], v[182:183]
	v_add_f64 v[227:228], v[182:183], -v[193:194]
	v_add_f64 v[229:230], v[180:181], -v[191:192]
	v_add_f64 v[223:224], v[152:153], v[166:167]
	v_fma_f64 v[142:143], v[205:206], -0.5, v[142:143]
	v_add_f64 v[225:226], v[154:155], v[176:177]
	v_add_f64 v[207:208], v[166:167], v[178:179]
	v_add_f64 v[233:234], v[166:167], -v[178:179]
	v_add_f64 v[211:212], v[164:165], v[156:157]
	v_add_f64 v[239:240], v[164:165], -v[156:157]
	v_add_f64 v[213:214], v[160:161], v[158:159]
	v_add_f64 v[209:210], v[176:177], v[195:196]
	v_fma_f64 v[144:145], v[162:163], -0.5, v[144:145]
	v_add_f64 v[162:163], v[184:185], -v[172:173]
	v_fma_f64 v[146:147], v[168:169], -0.5, v[146:147]
	v_fma_f64 v[140:141], v[170:171], -0.5, v[140:141]
	v_add_f64 v[235:236], v[160:161], -v[158:159]
	v_add_f64 v[231:232], v[176:177], -v[195:196]
	v_add_f64 v[166:167], v[215:216], v[172:173]
	v_add_f64 v[168:169], v[186:187], v[174:175]
	;; [unrolled: 1-line block ×5, first 2 shown]
	v_fma_f64 v[193:194], v[229:230], s[2:3], v[142:143]
	v_add_f64 v[176:177], v[225:226], v[195:196]
	v_fma_f64 v[152:153], v[207:208], -0.5, v[152:153]
	v_fma_f64 v[207:208], v[229:230], s[0:1], v[142:143]
	v_fma_f64 v[237:238], v[211:212], -0.5, v[148:149]
	v_fma_f64 v[241:242], v[213:214], -0.5, v[150:151]
	;; [unrolled: 1-line block ×3, first 2 shown]
	v_fma_f64 v[178:179], v[217:218], s[0:1], v[144:145]
	v_fma_f64 v[182:183], v[217:218], s[2:3], v[144:145]
	;; [unrolled: 1-line block ×14, first 2 shown]
	v_lshl_add_u32 v152, v189, 4, v198
	ds_write_b128 v197, v[166:169]
	ds_write_b128 v152, v[178:181] offset:4800
	ds_write_b128 v152, v[182:185] offset:9600
	;; [unrolled: 1-line block ×8, first 2 shown]
	s_and_saveexec_b32 s0, vcc_lo
	s_cbranch_execz .LBB0_9
; %bb.8:
	v_add_f64 v[150:151], v[150:151], v[160:161]
	v_add_f64 v[148:149], v[148:149], v[164:165]
	;; [unrolled: 1-line block ×4, first 2 shown]
	ds_write_b128 v197, v[148:151] offset:4320
	ds_write_b128 v152, v[140:143] offset:9120
	;; [unrolled: 1-line block ×3, first 2 shown]
.LBB0_9:
	s_or_b32 exec_lo, exec_lo, s0
	v_add_co_u32 v148, s0, 0x3800, v200
	v_add_co_ci_u32_e64 v149, s0, 0, v201, s0
	s_waitcnt lgkmcnt(0)
	s_barrier
	buffer_gl0_inv
	global_load_dwordx4 v[148:151], v[148:149], off offset:64
	v_add_co_u32 v153, s0, 0x3840, v200
	v_add_co_ci_u32_e64 v154, s0, 0, v201, s0
	s_mov_b32 s16, 0x134454ff
	s_mov_b32 s17, 0xbfee6f0e
	;; [unrolled: 1-line block ×3, first 2 shown]
	global_load_dwordx4 v[153:156], v[153:154], off offset:1440
	ds_read_b128 v[157:160], v197
	ds_read_b128 v[161:164], v197 offset:1440
	s_mov_b32 s2, s16
	s_mov_b32 s14, 0x4755a5e
	;; [unrolled: 1-line block ×12, first 2 shown]
	s_waitcnt vmcnt(1) lgkmcnt(1)
	v_mul_f64 v[165:166], v[159:160], v[150:151]
	v_mul_f64 v[150:151], v[157:158], v[150:151]
	v_fma_f64 v[157:158], v[157:158], v[148:149], -v[165:166]
	v_fma_f64 v[159:160], v[159:160], v[148:149], v[150:151]
	s_waitcnt vmcnt(0) lgkmcnt(0)
	v_mul_f64 v[148:149], v[163:164], v[155:156]
	v_mul_f64 v[150:151], v[161:162], v[155:156]
	v_fma_f64 v[148:149], v[161:162], v[153:154], -v[148:149]
	v_fma_f64 v[150:151], v[163:164], v[153:154], v[150:151]
	v_add_co_u32 v153, s0, 0x4000, v200
	v_add_co_ci_u32_e64 v154, s0, 0, v201, s0
	v_add_co_u32 v173, s0, 0x4800, v200
	v_add_co_ci_u32_e64 v174, s0, 0, v201, s0
	s_clause 0x1
	global_load_dwordx4 v[153:156], v[153:154], off offset:896
	global_load_dwordx4 v[161:164], v[173:174], off offset:288
	ds_read_b128 v[165:168], v197 offset:2880
	ds_read_b128 v[169:172], v197 offset:4320
	s_waitcnt vmcnt(1) lgkmcnt(1)
	v_mul_f64 v[175:176], v[167:168], v[155:156]
	v_mul_f64 v[155:156], v[165:166], v[155:156]
	v_fma_f64 v[165:166], v[165:166], v[153:154], -v[175:176]
	v_fma_f64 v[167:168], v[167:168], v[153:154], v[155:156]
	s_waitcnt vmcnt(0) lgkmcnt(0)
	v_mul_f64 v[153:154], v[171:172], v[163:164]
	v_mul_f64 v[155:156], v[169:170], v[163:164]
	v_fma_f64 v[153:154], v[169:170], v[161:162], -v[153:154]
	v_add_co_u32 v169, s0, 0x5000, v200
	v_add_co_ci_u32_e64 v170, s0, 0, v201, s0
	v_fma_f64 v[155:156], v[171:172], v[161:162], v[155:156]
	s_clause 0x1
	global_load_dwordx4 v[161:164], v[173:174], off offset:1728
	global_load_dwordx4 v[169:172], v[169:170], off offset:1120
	ds_read_b128 v[173:176], v197 offset:5760
	ds_read_b128 v[177:180], v197 offset:7200
	s_waitcnt vmcnt(1) lgkmcnt(1)
	v_mul_f64 v[181:182], v[175:176], v[163:164]
	v_mul_f64 v[163:164], v[173:174], v[163:164]
	v_fma_f64 v[173:174], v[173:174], v[161:162], -v[181:182]
	v_fma_f64 v[175:176], v[175:176], v[161:162], v[163:164]
	s_waitcnt vmcnt(0) lgkmcnt(0)
	v_mul_f64 v[161:162], v[179:180], v[171:172]
	v_mul_f64 v[163:164], v[177:178], v[171:172]
	v_fma_f64 v[161:162], v[177:178], v[169:170], -v[161:162]
	v_add_co_u32 v177, s0, 0x5800, v200
	v_add_co_ci_u32_e64 v178, s0, 0, v201, s0
	v_fma_f64 v[163:164], v[179:180], v[169:170], v[163:164]
	s_clause 0x1
	global_load_dwordx4 v[169:172], v[177:178], off offset:512
	global_load_dwordx4 v[177:180], v[177:178], off offset:1952
	ds_read_b128 v[181:184], v197 offset:8640
	ds_read_b128 v[191:194], v197 offset:10080
	s_waitcnt vmcnt(1) lgkmcnt(1)
	v_mul_f64 v[185:186], v[183:184], v[171:172]
	v_mul_f64 v[171:172], v[181:182], v[171:172]
	v_fma_f64 v[181:182], v[181:182], v[169:170], -v[185:186]
	v_fma_f64 v[183:184], v[183:184], v[169:170], v[171:172]
	s_waitcnt vmcnt(0) lgkmcnt(0)
	v_mul_f64 v[169:170], v[193:194], v[179:180]
	v_mul_f64 v[171:172], v[191:192], v[179:180]
	v_fma_f64 v[169:170], v[191:192], v[177:178], -v[169:170]
	v_fma_f64 v[171:172], v[193:194], v[177:178], v[171:172]
	v_add_co_u32 v177, s0, 0x6000, v200
	v_add_co_ci_u32_e64 v178, s0, 0, v201, s0
	v_add_co_u32 v185, s0, 0x6800, v200
	v_add_co_ci_u32_e64 v186, s0, 0, v201, s0
	s_clause 0x1
	global_load_dwordx4 v[177:180], v[177:178], off offset:1344
	global_load_dwordx4 v[191:194], v[185:186], off offset:736
	ds_read_b128 v[205:208], v197 offset:11520
	ds_read_b128 v[209:212], v197 offset:12960
	s_mov_b32 s0, s14
	s_waitcnt vmcnt(1) lgkmcnt(1)
	v_mul_f64 v[185:186], v[207:208], v[179:180]
	v_mul_f64 v[179:180], v[205:206], v[179:180]
	v_fma_f64 v[205:206], v[205:206], v[177:178], -v[185:186]
	v_fma_f64 v[207:208], v[207:208], v[177:178], v[179:180]
	s_waitcnt vmcnt(0) lgkmcnt(0)
	v_mul_f64 v[177:178], v[211:212], v[193:194]
	v_mul_f64 v[179:180], v[209:210], v[193:194]
	v_fma_f64 v[177:178], v[209:210], v[191:192], -v[177:178]
	v_fma_f64 v[179:180], v[211:212], v[191:192], v[179:180]
	ds_write_b128 v197, v[157:160]
	ds_write_b128 v197, v[148:151] offset:1440
	ds_write_b128 v197, v[165:168] offset:2880
	;; [unrolled: 1-line block ×9, first 2 shown]
	s_waitcnt lgkmcnt(0)
	s_barrier
	buffer_gl0_inv
	ds_read_b128 v[153:156], v197 offset:2880
	ds_read_b128 v[157:160], v197
	ds_read_b128 v[161:164], v197 offset:1440
	ds_read_b128 v[165:168], v197 offset:4320
	;; [unrolled: 1-line block ×6, first 2 shown]
	s_waitcnt lgkmcnt(6)
	v_add_f64 v[148:149], v[157:158], v[153:154]
	s_waitcnt lgkmcnt(3)
	v_add_f64 v[200:201], v[153:154], -v[169:170]
	s_waitcnt lgkmcnt(1)
	v_add_f64 v[195:196], v[169:170], v[177:178]
	v_add_f64 v[205:206], v[169:170], -v[153:154]
	v_add_f64 v[207:208], v[171:172], v[179:180]
	v_add_f64 v[209:210], v[169:170], -v[177:178]
	v_add_f64 v[211:212], v[155:156], -v[171:172]
	;; [unrolled: 1-line block ×3, first 2 shown]
	s_waitcnt lgkmcnt(0)
	v_add_f64 v[231:232], v[175:176], v[183:184]
	v_add_f64 v[223:224], v[173:174], v[181:182]
	v_add_f64 v[225:226], v[175:176], -v[183:184]
	v_add_f64 v[227:228], v[165:166], -v[173:174]
	;; [unrolled: 1-line block ×4, first 2 shown]
	v_add_f64 v[150:151], v[148:149], v[169:170]
	v_add_f64 v[148:149], v[159:160], v[155:156]
	v_fma_f64 v[207:208], v[207:208], -0.5, v[159:160]
	v_fma_f64 v[231:232], v[231:232], -0.5, v[163:164]
	;; [unrolled: 1-line block ×3, first 2 shown]
	v_add_f64 v[150:151], v[150:151], v[177:178]
	v_add_f64 v[185:186], v[148:149], v[171:172]
	v_add_f64 v[148:149], v[171:172], -v[179:180]
	ds_read_b128 v[169:172], v197 offset:11520
	ds_read_b128 v[191:194], v197 offset:12960
	s_waitcnt lgkmcnt(0)
	s_barrier
	buffer_gl0_inv
	v_add_f64 v[215:216], v[155:156], -v[171:172]
	v_add_f64 v[217:218], v[153:154], v[169:170]
	v_add_f64 v[219:220], v[153:154], -v[169:170]
	v_add_f64 v[153:154], v[155:156], v[171:172]
	v_add_f64 v[155:156], v[185:186], v[179:180]
	v_add_f64 v[185:186], v[169:170], -v[177:178]
	v_add_f64 v[177:178], v[177:178], -v[169:170]
	v_add_f64 v[150:151], v[150:151], v[169:170]
	v_add_f64 v[221:222], v[171:172], -v[179:180]
	v_add_f64 v[179:180], v[179:180], -v[171:172]
	;; [unrolled: 3-line block ×3, first 2 shown]
	v_add_f64 v[241:242], v[193:194], -v[183:184]
	v_add_f64 v[169:170], v[155:156], v[171:172]
	v_add_f64 v[155:156], v[161:162], v[165:166]
	;; [unrolled: 1-line block ×6, first 2 shown]
	v_fma_f64 v[237:238], v[237:238], -0.5, v[161:162]
	v_fma_f64 v[161:162], v[239:240], s[2:3], v[231:232]
	v_add_f64 v[155:156], v[155:156], v[173:174]
	v_add_f64 v[171:172], v[171:172], v[175:176]
	v_add_f64 v[173:174], v[167:168], -v[175:176]
	v_add_f64 v[175:176], v[175:176], -v[167:168]
	v_fma_f64 v[243:244], v[165:166], -0.5, v[163:164]
	v_fma_f64 v[163:164], v[235:236], s[16:17], v[223:224]
	v_fma_f64 v[161:162], v[233:234], s[0:1], v[161:162]
	v_add_f64 v[155:156], v[155:156], v[181:182]
	v_add_f64 v[167:168], v[171:172], v[183:184]
	v_add_f64 v[171:172], v[191:192], -v[181:182]
	v_add_f64 v[181:182], v[181:182], -v[191:192]
	;; [unrolled: 1-line block ×3, first 2 shown]
	v_fma_f64 v[163:164], v[225:226], s[14:15], v[163:164]
	v_add_f64 v[191:192], v[155:156], v[191:192]
	v_add_f64 v[167:168], v[167:168], v[193:194]
	v_fma_f64 v[193:194], v[195:196], -0.5, v[157:158]
	v_fma_f64 v[195:196], v[217:218], -0.5, v[157:158]
	;; [unrolled: 1-line block ×3, first 2 shown]
	v_add_f64 v[183:184], v[175:176], v[183:184]
	v_add_f64 v[181:182], v[229:230], v[181:182]
	;; [unrolled: 1-line block ×3, first 2 shown]
	v_add_f64 v[157:158], v[150:151], -v[191:192]
	v_add_f64 v[150:151], v[200:201], v[185:186]
	v_add_f64 v[200:201], v[173:174], v[241:242]
	;; [unrolled: 1-line block ×4, first 2 shown]
	v_add_f64 v[159:160], v[169:170], -v[167:168]
	v_add_f64 v[185:186], v[211:212], v[221:222]
	v_fma_f64 v[161:162], v[200:201], s[6:7], v[161:162]
	v_fma_f64 v[163:164], v[191:192], s[6:7], v[163:164]
	v_mul_f64 v[165:166], v[161:162], s[14:15]
	v_fma_f64 v[165:166], v[163:164], s[12:13], v[165:166]
	v_mul_f64 v[163:164], v[163:164], s[0:1]
	v_fma_f64 v[167:168], v[161:162], s[12:13], v[163:164]
	v_fma_f64 v[161:162], v[215:216], s[16:17], v[193:194]
	v_fma_f64 v[163:164], v[219:220], s[2:3], v[207:208]
	v_fma_f64 v[193:194], v[215:216], s[2:3], v[193:194]
	v_fma_f64 v[161:162], v[148:149], s[14:15], v[161:162]
	v_fma_f64 v[163:164], v[209:210], s[0:1], v[163:164]
	v_fma_f64 v[169:170], v[150:151], s[6:7], v[161:162]
	v_fma_f64 v[171:172], v[185:186], s[6:7], v[163:164]
	v_add_f64 v[161:162], v[169:170], v[165:166]
	v_add_f64 v[165:166], v[169:170], -v[165:166]
	v_fma_f64 v[169:170], v[233:234], s[16:17], v[243:244]
	v_add_f64 v[163:164], v[171:172], v[167:168]
	v_add_f64 v[167:168], v[171:172], -v[167:168]
	v_fma_f64 v[171:172], v[225:226], s[2:3], v[237:238]
	v_fma_f64 v[169:170], v[239:240], s[0:1], v[169:170]
	;; [unrolled: 1-line block ×5, first 2 shown]
	v_mul_f64 v[173:174], v[169:170], s[16:17]
	v_mul_f64 v[169:170], v[169:170], s[6:7]
	v_fma_f64 v[173:174], v[171:172], s[6:7], v[173:174]
	v_fma_f64 v[175:176], v[171:172], s[2:3], v[169:170]
	;; [unrolled: 1-line block ×13, first 2 shown]
	v_add_f64 v[169:170], v[205:206], v[173:174]
	v_add_f64 v[173:174], v[205:206], -v[173:174]
	v_fma_f64 v[177:178], v[219:220], s[14:15], v[177:178]
	v_add_f64 v[171:172], v[211:212], v[175:176]
	v_add_f64 v[175:176], v[211:212], -v[175:176]
	v_fma_f64 v[205:206], v[179:180], s[6:7], v[177:178]
	v_fma_f64 v[177:178], v[233:234], s[2:3], v[243:244]
	;; [unrolled: 1-line block ×7, first 2 shown]
	v_mul_f64 v[181:182], v[177:178], s[16:17]
	v_mul_f64 v[177:178], v[177:178], s[18:19]
	v_fma_f64 v[181:182], v[179:180], s[18:19], v[181:182]
	v_fma_f64 v[183:184], v[179:180], s[2:3], v[177:178]
	v_add_f64 v[177:178], v[195:196], v[181:182]
	v_add_f64 v[181:182], v[195:196], -v[181:182]
	v_fma_f64 v[195:196], v[239:240], s[16:17], v[231:232]
	v_add_f64 v[179:180], v[205:206], v[183:184]
	v_add_f64 v[183:184], v[205:206], -v[183:184]
	v_fma_f64 v[205:206], v[219:220], s[16:17], v[207:208]
	v_fma_f64 v[207:208], v[235:236], s[2:3], v[223:224]
	;; [unrolled: 1-line block ×9, first 2 shown]
	v_mul_f64 v[150:151], v[195:196], s[14:15]
	v_mul_f64 v[191:192], v[195:196], s[20:21]
	v_fma_f64 v[193:194], v[148:149], s[20:21], v[150:151]
	v_fma_f64 v[195:196], v[148:149], s[0:1], v[191:192]
	v_add_f64 v[148:149], v[200:201], v[193:194]
	v_add_f64 v[150:151], v[185:186], v[195:196]
	v_add_f64 v[191:192], v[200:201], -v[193:194]
	v_add_f64 v[193:194], v[185:186], -v[195:196]
	ds_write_b128 v204, v[153:156]
	ds_write_b128 v204, v[157:160] offset:80
	ds_write_b128 v204, v[161:164] offset:16
	;; [unrolled: 1-line block ×9, first 2 shown]
	s_waitcnt lgkmcnt(0)
	s_barrier
	buffer_gl0_inv
	ds_read_b128 v[148:151], v197 offset:1440
	ds_read_b128 v[153:156], v197
	ds_read_b128 v[157:160], v197 offset:2880
	ds_read_b128 v[161:164], v197 offset:4320
	s_waitcnt lgkmcnt(3)
	v_mul_f64 v[165:166], v[114:115], v[150:151]
	v_mul_f64 v[114:115], v[114:115], v[148:149]
	s_waitcnt lgkmcnt(1)
	v_mul_f64 v[167:168], v[110:111], v[159:160]
	v_mul_f64 v[110:111], v[110:111], v[157:158]
	v_fma_f64 v[148:149], v[112:113], v[148:149], v[165:166]
	s_waitcnt lgkmcnt(0)
	v_mul_f64 v[165:166], v[94:95], v[163:164]
	v_mul_f64 v[94:95], v[94:95], v[161:162]
	v_fma_f64 v[150:151], v[112:113], v[150:151], -v[114:115]
	v_fma_f64 v[157:158], v[108:109], v[157:158], v[167:168]
	v_fma_f64 v[159:160], v[108:109], v[159:160], -v[110:111]
	ds_read_b128 v[108:111], v197 offset:5760
	ds_read_b128 v[112:115], v197 offset:7200
	v_fma_f64 v[161:162], v[92:93], v[161:162], v[165:166]
	v_fma_f64 v[94:95], v[92:93], v[163:164], -v[94:95]
	s_waitcnt lgkmcnt(1)
	v_mul_f64 v[167:168], v[106:107], v[110:111]
	v_mul_f64 v[92:93], v[106:107], v[108:109]
	s_waitcnt lgkmcnt(0)
	v_mul_f64 v[163:164], v[90:91], v[114:115]
	v_mul_f64 v[165:166], v[90:91], v[112:113]
	v_fma_f64 v[167:168], v[104:105], v[108:109], v[167:168]
	v_fma_f64 v[169:170], v[104:105], v[110:111], -v[92:93]
	ds_read_b128 v[90:93], v197 offset:8640
	ds_read_b128 v[104:107], v197 offset:10080
	v_fma_f64 v[112:113], v[88:89], v[112:113], v[163:164]
	v_fma_f64 v[114:115], v[88:89], v[114:115], -v[165:166]
	ds_read_b128 v[108:111], v197 offset:11520
	s_waitcnt lgkmcnt(2)
	v_mul_f64 v[171:172], v[102:103], v[92:93]
	v_mul_f64 v[88:89], v[102:103], v[90:91]
	s_waitcnt lgkmcnt(1)
	v_mul_f64 v[163:164], v[78:79], v[106:107]
	v_mul_f64 v[78:79], v[78:79], v[104:105]
	v_add_f64 v[165:166], v[167:168], -v[157:158]
	v_fma_f64 v[102:103], v[100:101], v[90:91], v[171:172]
	v_fma_f64 v[92:93], v[100:101], v[92:93], -v[88:89]
	ds_read_b128 v[88:91], v197 offset:12960
	s_waitcnt lgkmcnt(1)
	v_mul_f64 v[100:101], v[98:99], v[110:111]
	v_mul_f64 v[98:99], v[98:99], v[108:109]
	v_fma_f64 v[104:105], v[76:77], v[104:105], v[163:164]
	v_fma_f64 v[76:77], v[76:77], v[106:107], -v[78:79]
	v_add_f64 v[163:164], v[155:156], v[159:160]
	s_waitcnt lgkmcnt(0)
	s_barrier
	buffer_gl0_inv
	v_add_f64 v[106:107], v[169:170], v[92:93]
	v_fma_f64 v[100:101], v[96:97], v[108:109], v[100:101]
	v_fma_f64 v[96:97], v[96:97], v[110:111], -v[98:99]
	v_mul_f64 v[98:99], v[42:43], v[90:91]
	v_mul_f64 v[42:43], v[42:43], v[88:89]
	v_add_f64 v[110:111], v[153:154], v[157:158]
	v_fma_f64 v[106:107], v[106:107], -0.5, v[155:156]
	v_add_f64 v[108:109], v[159:160], v[96:97]
	v_fma_f64 v[78:79], v[40:41], v[88:89], v[98:99]
	v_add_f64 v[88:89], v[167:168], v[102:103]
	v_add_f64 v[98:99], v[157:158], v[100:101]
	v_fma_f64 v[40:41], v[40:41], v[90:91], -v[42:43]
	v_add_f64 v[42:43], v[157:158], -v[167:168]
	v_add_f64 v[90:91], v[100:101], -v[102:103]
	v_add_f64 v[110:111], v[110:111], v[167:168]
	v_add_f64 v[167:168], v[167:168], -v[102:103]
	v_fma_f64 v[108:109], v[108:109], -0.5, v[155:156]
	v_add_f64 v[155:156], v[159:160], -v[169:170]
	v_fma_f64 v[88:89], v[88:89], -0.5, v[153:154]
	v_fma_f64 v[98:99], v[98:99], -0.5, v[153:154]
	v_add_f64 v[153:154], v[102:103], -v[100:101]
	v_add_f64 v[171:172], v[78:79], -v[104:105]
	v_add_f64 v[42:43], v[42:43], v[90:91]
	v_add_f64 v[90:91], v[96:97], -v[92:93]
	v_add_f64 v[102:103], v[110:111], v[102:103]
	v_add_f64 v[110:111], v[163:164], v[169:170]
	v_add_f64 v[173:174], v[104:105], -v[78:79]
	v_add_f64 v[163:164], v[169:170], -v[92:93]
	v_add_f64 v[175:176], v[40:41], -v[76:77]
	v_add_f64 v[177:178], v[76:77], -v[40:41]
	v_add_f64 v[153:154], v[165:166], v[153:154]
	v_add_f64 v[165:166], v[169:170], -v[159:160]
	v_add_f64 v[169:170], v[161:162], v[78:79]
	v_add_f64 v[90:91], v[155:156], v[90:91]
	v_add_f64 v[155:156], v[92:93], -v[96:97]
	v_add_f64 v[92:93], v[110:111], v[92:93]
	v_add_f64 v[110:111], v[112:113], v[104:105]
	v_fma_f64 v[169:170], v[169:170], -0.5, v[148:149]
	v_add_f64 v[155:156], v[165:166], v[155:156]
	v_add_f64 v[165:166], v[161:162], -v[112:113]
	v_fma_f64 v[110:111], v[110:111], -0.5, v[148:149]
	v_add_f64 v[148:149], v[148:149], v[161:162]
	v_add_f64 v[92:93], v[92:93], v[96:97]
	;; [unrolled: 1-line block ×3, first 2 shown]
	v_add_f64 v[171:172], v[112:113], -v[161:162]
	v_add_f64 v[148:149], v[148:149], v[112:113]
	v_add_f64 v[112:113], v[112:113], -v[104:105]
	v_add_f64 v[171:172], v[171:172], v[173:174]
	;; [unrolled: 2-line block ×3, first 2 shown]
	v_add_f64 v[148:149], v[114:115], v[76:77]
	v_add_f64 v[173:174], v[173:174], v[175:176]
	v_add_f64 v[175:176], v[114:115], -v[94:95]
	v_fma_f64 v[148:149], v[148:149], -0.5, v[150:151]
	v_add_f64 v[104:105], v[104:105], v[78:79]
	v_add_f64 v[175:176], v[175:176], v[177:178]
	;; [unrolled: 1-line block ×3, first 2 shown]
	v_fma_f64 v[177:178], v[177:178], -0.5, v[150:151]
	v_add_f64 v[150:151], v[150:151], v[94:95]
	v_add_f64 v[94:95], v[94:95], -v[40:41]
	v_add_f64 v[150:151], v[150:151], v[114:115]
	v_add_f64 v[114:115], v[114:115], -v[76:77]
	;; [unrolled: 2-line block ×4, first 2 shown]
	v_fma_f64 v[159:160], v[163:164], s[2:3], v[98:99]
	v_fma_f64 v[98:99], v[163:164], s[16:17], v[98:99]
	v_add_f64 v[96:97], v[161:162], -v[78:79]
	v_fma_f64 v[161:162], v[112:113], s[2:3], v[177:178]
	v_add_f64 v[40:41], v[76:77], v[40:41]
	v_add_f64 v[76:77], v[100:101], v[104:105]
	v_fma_f64 v[157:158], v[102:103], s[16:17], v[88:89]
	v_fma_f64 v[88:89], v[102:103], s[2:3], v[88:89]
	;; [unrolled: 1-line block ×23, first 2 shown]
	v_add_f64 v[88:89], v[100:101], -v[104:105]
	v_fma_f64 v[161:162], v[173:174], s[6:7], v[161:162]
	v_fma_f64 v[112:113], v[173:174], s[6:7], v[112:113]
	v_fma_f64 v[148:149], v[114:115], s[14:15], v[148:149]
	v_fma_f64 v[110:111], v[114:115], s[0:1], v[110:111]
	v_fma_f64 v[114:115], v[94:95], s[14:15], v[163:164]
	v_fma_f64 v[163:164], v[150:151], s[2:3], v[106:107]
	v_fma_f64 v[94:95], v[94:95], s[0:1], v[169:170]
	v_fma_f64 v[106:107], v[150:151], s[16:17], v[106:107]
	v_fma_f64 v[169:170], v[167:168], s[16:17], v[108:109]
	v_fma_f64 v[108:109], v[167:168], s[2:3], v[108:109]
	v_fma_f64 v[78:79], v[165:166], s[6:7], v[148:149]
	v_mul_f64 v[148:149], v[161:162], s[14:15]
	v_mul_f64 v[161:162], v[161:162], s[12:13]
	v_fma_f64 v[163:164], v[167:168], s[0:1], v[163:164]
	v_fma_f64 v[114:115], v[171:172], s[6:7], v[114:115]
	v_fma_f64 v[106:107], v[167:168], s[14:15], v[106:107]
	v_fma_f64 v[167:168], v[150:151], s[0:1], v[169:170]
	v_fma_f64 v[108:109], v[150:151], s[14:15], v[108:109]
	v_mul_f64 v[150:151], v[102:103], s[16:17]
	v_mul_f64 v[102:103], v[102:103], s[6:7]
	v_fma_f64 v[94:95], v[171:172], s[6:7], v[94:95]
	v_mul_f64 v[169:170], v[96:97], s[16:17]
	v_mul_f64 v[96:97], v[96:97], s[18:19]
	v_fma_f64 v[110:111], v[165:166], s[6:7], v[110:111]
	;; [unrolled: 3-line block ×3, first 2 shown]
	v_fma_f64 v[161:162], v[78:79], s[0:1], v[161:162]
	v_fma_f64 v[163:164], v[90:91], s[6:7], v[163:164]
	v_add_f64 v[78:79], v[92:93], v[40:41]
	v_fma_f64 v[171:172], v[90:91], s[6:7], v[106:107]
	v_fma_f64 v[167:168], v[155:156], s[6:7], v[167:168]
	;; [unrolled: 1-line block ×5, first 2 shown]
	v_add_f64 v[90:91], v[92:93], -v[40:41]
	v_fma_f64 v[169:170], v[94:95], s[18:19], v[169:170]
	v_fma_f64 v[173:174], v[94:95], s[2:3], v[96:97]
	v_fma_f64 v[165:166], v[110:111], s[20:21], v[165:166]
	v_fma_f64 v[175:176], v[110:111], s[0:1], v[112:113]
	v_add_f64 v[92:93], v[157:158], v[148:149]
	v_add_f64 v[100:101], v[157:158], -v[148:149]
	v_add_f64 v[94:95], v[163:164], v[161:162]
	v_add_f64 v[102:103], v[163:164], -v[161:162]
	v_add_f64 v[96:97], v[159:160], v[150:151]
	v_add_f64 v[98:99], v[167:168], v[114:115]
	v_add_f64 v[110:111], v[167:168], -v[114:115]
	v_add_f64 v[104:105], v[153:154], v[169:170]
	;; [unrolled: 3-line block ×3, first 2 shown]
	v_add_f64 v[114:115], v[171:172], v[175:176]
	v_add_f64 v[148:149], v[153:154], -v[169:170]
	v_add_f64 v[150:151], v[155:156], -v[173:174]
	;; [unrolled: 1-line block ×4, first 2 shown]
	ds_write_b128 v199, v[76:79]
	ds_write_b128 v199, v[88:91] offset:800
	ds_write_b128 v199, v[92:95] offset:160
	;; [unrolled: 1-line block ×9, first 2 shown]
	s_waitcnt lgkmcnt(0)
	s_barrier
	buffer_gl0_inv
	ds_read_b128 v[76:79], v197
	ds_read_b128 v[88:91], v197 offset:1440
	ds_read_b128 v[96:99], v197 offset:9600
	ds_read_b128 v[100:103], v197 offset:11040
	ds_read_b128 v[148:151], v197 offset:4800
	ds_read_b128 v[92:95], v197 offset:2880
	ds_read_b128 v[112:115], v197 offset:6240
	ds_read_b128 v[104:107], v197 offset:7680
	ds_read_b128 v[108:111], v197 offset:12480
	s_and_saveexec_b32 s0, vcc_lo
	s_cbranch_execz .LBB0_11
; %bb.10:
	ds_read_b128 v[40:43], v197 offset:4320
	ds_read_b128 v[140:143], v197 offset:9120
	;; [unrolled: 1-line block ×3, first 2 shown]
.LBB0_11:
	s_or_b32 exec_lo, exec_lo, s0
	s_waitcnt lgkmcnt(4)
	v_mul_f64 v[153:154], v[58:59], v[150:151]
	v_mul_f64 v[58:59], v[58:59], v[148:149]
	;; [unrolled: 1-line block ×4, first 2 shown]
	s_waitcnt lgkmcnt(2)
	v_mul_f64 v[157:158], v[54:55], v[114:115]
	v_mul_f64 v[159:160], v[46:47], v[102:103]
	;; [unrolled: 1-line block ×4, first 2 shown]
	s_waitcnt lgkmcnt(1)
	v_mul_f64 v[161:162], v[66:67], v[106:107]
	s_waitcnt lgkmcnt(0)
	v_mul_f64 v[163:164], v[62:63], v[110:111]
	v_mul_f64 v[66:67], v[66:67], v[104:105]
	;; [unrolled: 1-line block ×7, first 2 shown]
	s_mov_b32 s0, 0xe8584caa
	s_mov_b32 s1, 0xbfebb67a
	;; [unrolled: 1-line block ×4, first 2 shown]
	s_barrier
	v_fma_f64 v[148:149], v[56:57], v[148:149], v[153:154]
	v_fma_f64 v[56:57], v[56:57], v[150:151], -v[58:59]
	v_fma_f64 v[58:59], v[48:49], v[96:97], v[155:156]
	v_fma_f64 v[48:49], v[48:49], v[98:99], -v[50:51]
	v_fma_f64 v[50:51], v[52:53], v[112:113], v[157:158]
	v_fma_f64 v[96:97], v[44:45], v[100:101], v[159:160]
	v_fma_f64 v[52:53], v[52:53], v[114:115], -v[54:55]
	v_fma_f64 v[44:45], v[44:45], v[102:103], -v[46:47]
	v_fma_f64 v[46:47], v[64:65], v[104:105], v[161:162]
	v_fma_f64 v[98:99], v[60:61], v[108:109], v[163:164]
	v_fma_f64 v[54:55], v[64:65], v[106:107], -v[66:67]
	;; [unrolled: 4-line block ×3, first 2 shown]
	v_fma_f64 v[68:69], v[68:69], v[146:147], -v[70:71]
	buffer_gl0_inv
	v_add_f64 v[104:105], v[76:77], v[148:149]
	v_add_f64 v[70:71], v[148:149], v[58:59]
	;; [unrolled: 1-line block ×3, first 2 shown]
	v_add_f64 v[108:109], v[56:57], -v[48:49]
	v_add_f64 v[74:75], v[50:51], v[96:97]
	v_add_f64 v[56:57], v[78:79], v[56:57]
	;; [unrolled: 1-line block ×3, first 2 shown]
	v_add_f64 v[114:115], v[148:149], -v[58:59]
	v_add_f64 v[102:103], v[46:47], v[98:99]
	v_add_f64 v[140:141], v[88:89], v[50:51]
	;; [unrolled: 1-line block ×10, first 2 shown]
	v_add_f64 v[50:51], v[50:51], -v[96:97]
	v_add_f64 v[153:154], v[54:55], -v[62:63]
	;; [unrolled: 1-line block ×3, first 2 shown]
	v_fma_f64 v[70:71], v[70:71], -0.5, v[76:77]
	v_add_f64 v[76:77], v[52:53], -v[44:45]
	v_fma_f64 v[72:73], v[72:73], -0.5, v[78:79]
	v_fma_f64 v[74:75], v[74:75], -0.5, v[88:89]
	v_add_f64 v[52:53], v[104:105], v[58:59]
	v_fma_f64 v[78:79], v[100:101], -0.5, v[90:91]
	v_add_f64 v[100:101], v[66:67], -v[68:69]
	v_fma_f64 v[90:91], v[102:103], -0.5, v[92:93]
	v_add_f64 v[102:103], v[60:61], -v[64:65]
	v_fma_f64 v[94:95], v[106:107], -0.5, v[94:95]
	v_add_f64 v[54:55], v[56:57], v[48:49]
	v_fma_f64 v[106:107], v[110:111], -0.5, v[40:41]
	v_add_f64 v[58:59], v[142:143], v[44:45]
	;; [unrolled: 2-line block ×3, first 2 shown]
	v_add_f64 v[40:41], v[148:149], v[64:65]
	v_add_f64 v[42:43], v[150:151], v[68:69]
	;; [unrolled: 1-line block ×4, first 2 shown]
	v_fma_f64 v[64:65], v[108:109], s[0:1], v[70:71]
	v_fma_f64 v[68:69], v[108:109], s[2:3], v[70:71]
	;; [unrolled: 1-line block ×16, first 2 shown]
	ds_write_b128 v197, v[52:55]
	ds_write_b128 v197, v[64:67] offset:1600
	ds_write_b128 v197, v[68:71] offset:3200
	ds_write_b128 v202, v[56:59]
	ds_write_b128 v202, v[72:75] offset:1600
	ds_write_b128 v202, v[76:79] offset:3200
	;; [unrolled: 3-line block ×3, first 2 shown]
	s_and_saveexec_b32 s0, vcc_lo
	s_cbranch_execz .LBB0_13
; %bb.12:
	v_lshl_add_u32 v52, v190, 4, v198
	ds_write_b128 v52, v[40:43] offset:9600
	ds_write_b128 v52, v[44:47] offset:11200
	;; [unrolled: 1-line block ×3, first 2 shown]
.LBB0_13:
	s_or_b32 exec_lo, exec_lo, s0
	s_waitcnt lgkmcnt(0)
	s_barrier
	buffer_gl0_inv
	ds_read_b128 v[60:63], v197
	ds_read_b128 v[52:55], v197 offset:1440
	ds_read_b128 v[76:79], v197 offset:9600
	;; [unrolled: 1-line block ×8, first 2 shown]
	v_add_nc_u32_e32 v96, 0xb40, v197
	s_and_saveexec_b32 s0, vcc_lo
	s_cbranch_execz .LBB0_15
; %bb.14:
	ds_read_b128 v[40:43], v197 offset:4320
	ds_read_b128 v[44:47], v197 offset:9120
	;; [unrolled: 1-line block ×3, first 2 shown]
.LBB0_15:
	s_or_b32 exec_lo, exec_lo, s0
	s_waitcnt lgkmcnt(4)
	v_mul_f64 v[97:98], v[118:119], v[94:95]
	v_mul_f64 v[99:100], v[122:123], v[78:79]
	;; [unrolled: 1-line block ×4, first 2 shown]
	s_waitcnt lgkmcnt(2)
	v_mul_f64 v[105:106], v[126:127], v[90:91]
	v_mul_f64 v[107:108], v[130:131], v[66:67]
	;; [unrolled: 1-line block ×4, first 2 shown]
	s_waitcnt lgkmcnt(1)
	v_mul_f64 v[113:114], v[134:135], v[70:71]
	s_waitcnt lgkmcnt(0)
	v_mul_f64 v[118:119], v[138:139], v[74:75]
	v_mul_f64 v[122:123], v[134:135], v[68:69]
	v_mul_f64 v[126:127], v[138:139], v[72:73]
	s_mov_b32 s0, 0xe8584caa
	s_mov_b32 s1, 0xbfebb67a
	;; [unrolled: 1-line block ×3, first 2 shown]
	v_fma_f64 v[92:93], v[116:117], v[92:93], v[97:98]
	v_fma_f64 v[76:77], v[120:121], v[76:77], v[99:100]
	v_fma_f64 v[94:95], v[116:117], v[94:95], -v[101:102]
	v_fma_f64 v[78:79], v[120:121], v[78:79], -v[103:104]
	v_fma_f64 v[88:89], v[124:125], v[88:89], v[105:106]
	v_fma_f64 v[64:65], v[128:129], v[64:65], v[107:108]
	v_fma_f64 v[90:91], v[124:125], v[90:91], -v[109:110]
	v_fma_f64 v[66:67], v[128:129], v[66:67], -v[111:112]
	;; [unrolled: 4-line block ×3, first 2 shown]
	v_add_f64 v[109:110], v[60:61], v[92:93]
	v_add_f64 v[97:98], v[92:93], v[76:77]
	v_add_f64 v[92:93], v[92:93], -v[76:77]
	v_add_f64 v[99:100], v[94:95], v[78:79]
	v_add_f64 v[111:112], v[94:95], -v[78:79]
	v_add_f64 v[101:102], v[88:89], v[64:65]
	v_add_f64 v[94:95], v[62:63], v[94:95]
	;; [unrolled: 1-line block ×9, first 2 shown]
	v_add_f64 v[90:91], v[90:91], -v[66:67]
	v_add_f64 v[88:89], v[88:89], -v[64:65]
	;; [unrolled: 1-line block ×4, first 2 shown]
	v_fma_f64 v[97:98], v[97:98], -0.5, v[60:61]
	v_fma_f64 v[99:100], v[99:100], -0.5, v[62:63]
	;; [unrolled: 1-line block ×3, first 2 shown]
	v_add_f64 v[52:53], v[109:110], v[76:77]
	v_fma_f64 v[103:104], v[103:104], -0.5, v[54:55]
	v_add_f64 v[54:55], v[94:95], v[78:79]
	v_fma_f64 v[105:106], v[105:106], -0.5, v[56:57]
	;; [unrolled: 2-line block ×3, first 2 shown]
	v_add_f64 v[58:59], v[115:116], v[66:67]
	v_add_f64 v[60:61], v[117:118], v[72:73]
	;; [unrolled: 1-line block ×3, first 2 shown]
	v_fma_f64 v[64:65], v[111:112], s[0:1], v[97:98]
	v_fma_f64 v[68:69], v[111:112], s[2:3], v[97:98]
	;; [unrolled: 1-line block ×12, first 2 shown]
	ds_write_b128 v197, v[52:55]
	ds_write_b128 v152, v[64:67] offset:4800
	ds_write_b128 v152, v[68:71] offset:9600
	;; [unrolled: 1-line block ×8, first 2 shown]
	s_and_saveexec_b32 s6, vcc_lo
	s_cbranch_execz .LBB0_17
; %bb.16:
	v_mul_f64 v[52:53], v[82:83], v[44:45]
	v_mul_f64 v[54:55], v[86:87], v[48:49]
	;; [unrolled: 1-line block ×4, first 2 shown]
	v_fma_f64 v[46:47], v[80:81], v[46:47], -v[52:53]
	v_fma_f64 v[50:51], v[84:85], v[50:51], -v[54:55]
	v_fma_f64 v[44:45], v[80:81], v[44:45], v[56:57]
	v_fma_f64 v[48:49], v[84:85], v[48:49], v[58:59]
	v_add_f64 v[58:59], v[42:43], v[46:47]
	v_add_f64 v[52:53], v[46:47], v[50:51]
	v_add_f64 v[60:61], v[46:47], -v[50:51]
	v_add_f64 v[54:55], v[44:45], v[48:49]
	v_add_f64 v[56:57], v[44:45], -v[48:49]
	v_add_f64 v[44:45], v[40:41], v[44:45]
	v_fma_f64 v[52:53], v[52:53], -0.5, v[42:43]
	v_add_f64 v[42:43], v[58:59], v[50:51]
	v_fma_f64 v[54:55], v[54:55], -0.5, v[40:41]
	v_add_f64 v[40:41], v[44:45], v[48:49]
	v_fma_f64 v[50:51], v[56:57], s[2:3], v[52:53]
	v_fma_f64 v[46:47], v[56:57], s[0:1], v[52:53]
	;; [unrolled: 1-line block ×4, first 2 shown]
	ds_write_b128 v197, v[40:43] offset:4320
	ds_write_b128 v152, v[48:51] offset:9120
	;; [unrolled: 1-line block ×3, first 2 shown]
.LBB0_17:
	s_or_b32 exec_lo, exec_lo, s6
	s_waitcnt lgkmcnt(0)
	s_barrier
	buffer_gl0_inv
	ds_read_b128 v[40:43], v197
	ds_read_b128 v[44:47], v197 offset:1440
	ds_read_b128 v[48:51], v197 offset:2880
	;; [unrolled: 1-line block ×3, first 2 shown]
	v_mad_u64_u32 v[80:81], null, s10, v188, 0
	v_mad_u64_u32 v[82:83], null, s8, v189, 0
	ds_read_b128 v[56:59], v197 offset:5760
	ds_read_b128 v[60:63], v197 offset:7200
	;; [unrolled: 1-line block ×6, first 2 shown]
	s_mov_b32 s0, 0x789abcdf
	s_mov_b32 s1, 0x3f523456
	s_mul_i32 s3, s9, 0x5a0
	s_mul_hi_u32 s6, s8, 0x5a0
	s_mul_i32 s2, s8, 0x5a0
	v_mad_u64_u32 v[88:89], null, s11, v188, v[81:82]
	s_add_i32 s6, s6, s3
	s_waitcnt lgkmcnt(9)
	v_mul_f64 v[84:85], v[2:3], v[42:43]
	v_mul_f64 v[2:3], v[2:3], v[40:41]
	s_waitcnt lgkmcnt(8)
	v_mul_f64 v[86:87], v[6:7], v[46:47]
	v_mul_f64 v[6:7], v[6:7], v[44:45]
	;; [unrolled: 3-line block ×3, first 2 shown]
	v_mov_b32_e32 v81, v88
	s_waitcnt lgkmcnt(0)
	v_mul_f64 v[94:95], v[38:39], v[78:79]
	v_mul_f64 v[38:39], v[38:39], v[76:77]
	v_lshlrev_b64 v[80:81], 4, v[80:81]
	v_fma_f64 v[40:41], v[0:1], v[40:41], v[84:85]
	v_fma_f64 v[2:3], v[0:1], v[42:43], -v[2:3]
	v_mad_u64_u32 v[89:90], null, s9, v189, v[83:84]
	v_fma_f64 v[42:43], v[4:5], v[44:45], v[86:87]
	v_fma_f64 v[6:7], v[4:5], v[46:47], -v[6:7]
	v_mul_f64 v[90:91], v[30:31], v[50:51]
	v_mul_f64 v[30:31], v[30:31], v[48:49]
	;; [unrolled: 1-line block ×6, first 2 shown]
	v_mov_b32_e32 v83, v89
	v_mul_f64 v[84:85], v[18:19], v[66:67]
	v_mul_f64 v[18:19], v[18:19], v[64:65]
	v_mul_f64 v[86:87], v[14:15], v[70:71]
	v_mul_f64 v[14:15], v[14:15], v[68:69]
	v_mul_f64 v[88:89], v[34:35], v[74:75]
	v_mul_f64 v[34:35], v[34:35], v[72:73]
	v_lshlrev_b64 v[82:83], 4, v[82:83]
	v_mul_f64 v[0:1], v[40:41], s[0:1]
	v_mul_f64 v[2:3], v[2:3], s[0:1]
	v_add_co_u32 v40, vcc_lo, s4, v80
	v_mul_f64 v[4:5], v[42:43], s[0:1]
	v_mul_f64 v[6:7], v[6:7], s[0:1]
	v_fma_f64 v[48:49], v[28:29], v[48:49], v[90:91]
	v_fma_f64 v[28:29], v[28:29], v[50:51], -v[30:31]
	v_fma_f64 v[30:31], v[24:25], v[52:53], v[92:93]
	v_fma_f64 v[24:25], v[24:25], v[54:55], -v[26:27]
	v_add_co_ci_u32_e32 v41, vcc_lo, s5, v81, vcc_lo
	v_add_co_u32 v26, vcc_lo, v40, v82
	v_fma_f64 v[42:43], v[8:9], v[56:57], v[44:45]
	v_add_co_ci_u32_e32 v27, vcc_lo, v41, v83, vcc_lo
	v_add_co_u32 v40, vcc_lo, v26, s2
	v_fma_f64 v[44:45], v[8:9], v[58:59], -v[10:11]
	v_add_co_ci_u32_e32 v41, vcc_lo, s6, v27, vcc_lo
	global_store_dwordx4 v[26:27], v[0:3], off
	global_store_dwordx4 v[40:41], v[4:7], off
	v_fma_f64 v[26:27], v[20:21], v[60:61], v[46:47]
	v_fma_f64 v[20:21], v[20:21], v[62:63], -v[22:23]
	v_fma_f64 v[22:23], v[16:17], v[64:65], v[84:85]
	v_fma_f64 v[18:19], v[16:17], v[66:67], -v[18:19]
	v_mul_f64 v[10:11], v[28:29], s[0:1]
	v_mul_f64 v[2:3], v[24:25], s[0:1]
	v_fma_f64 v[24:25], v[12:13], v[68:69], v[86:87]
	v_fma_f64 v[28:29], v[12:13], v[70:71], -v[14:15]
	v_mul_f64 v[0:1], v[30:31], s[0:1]
	v_fma_f64 v[30:31], v[32:33], v[72:73], v[88:89]
	v_fma_f64 v[32:33], v[32:33], v[74:75], -v[34:35]
	v_fma_f64 v[34:35], v[36:37], v[76:77], v[94:95]
	v_fma_f64 v[36:37], v[36:37], v[78:79], -v[38:39]
	v_add_co_u32 v50, vcc_lo, v40, s2
	v_add_co_ci_u32_e32 v51, vcc_lo, s6, v41, vcc_lo
	v_mul_f64 v[8:9], v[48:49], s[0:1]
	v_add_co_u32 v38, vcc_lo, v50, s2
	v_add_co_ci_u32_e32 v39, vcc_lo, s6, v51, vcc_lo
	v_mul_f64 v[4:5], v[42:43], s[0:1]
	;; [unrolled: 3-line block ×3, first 2 shown]
	v_add_co_u32 v42, vcc_lo, v40, s2
	v_mul_f64 v[12:13], v[26:27], s[0:1]
	v_mul_f64 v[14:15], v[20:21], s[0:1]
	v_add_co_ci_u32_e32 v43, vcc_lo, s6, v41, vcc_lo
	v_mul_f64 v[16:17], v[22:23], s[0:1]
	v_mul_f64 v[18:19], v[18:19], s[0:1]
	;; [unrolled: 1-line block ×8, first 2 shown]
	v_add_co_u32 v32, vcc_lo, v42, s2
	v_add_co_ci_u32_e32 v33, vcc_lo, s6, v43, vcc_lo
	global_store_dwordx4 v[50:51], v[8:11], off
	v_add_co_u32 v8, vcc_lo, v32, s2
	v_add_co_ci_u32_e32 v9, vcc_lo, s6, v33, vcc_lo
	global_store_dwordx4 v[38:39], v[0:3], off
	;; [unrolled: 3-line block ×4, first 2 shown]
	global_store_dwordx4 v[32:33], v[16:19], off
	global_store_dwordx4 v[8:9], v[20:23], off
	;; [unrolled: 1-line block ×4, first 2 shown]
.LBB0_18:
	s_endpgm
	.section	.rodata,"a",@progbits
	.p2align	6, 0x0
	.amdhsa_kernel bluestein_single_fwd_len900_dim1_dp_op_CI_CI
		.amdhsa_group_segment_fixed_size 28800
		.amdhsa_private_segment_fixed_size 0
		.amdhsa_kernarg_size 104
		.amdhsa_user_sgpr_count 6
		.amdhsa_user_sgpr_private_segment_buffer 1
		.amdhsa_user_sgpr_dispatch_ptr 0
		.amdhsa_user_sgpr_queue_ptr 0
		.amdhsa_user_sgpr_kernarg_segment_ptr 1
		.amdhsa_user_sgpr_dispatch_id 0
		.amdhsa_user_sgpr_flat_scratch_init 0
		.amdhsa_user_sgpr_private_segment_size 0
		.amdhsa_wavefront_size32 1
		.amdhsa_uses_dynamic_stack 0
		.amdhsa_system_sgpr_private_segment_wavefront_offset 0
		.amdhsa_system_sgpr_workgroup_id_x 1
		.amdhsa_system_sgpr_workgroup_id_y 0
		.amdhsa_system_sgpr_workgroup_id_z 0
		.amdhsa_system_sgpr_workgroup_info 0
		.amdhsa_system_vgpr_workitem_id 0
		.amdhsa_next_free_vgpr 245
		.amdhsa_next_free_sgpr 22
		.amdhsa_reserve_vcc 1
		.amdhsa_reserve_flat_scratch 0
		.amdhsa_float_round_mode_32 0
		.amdhsa_float_round_mode_16_64 0
		.amdhsa_float_denorm_mode_32 3
		.amdhsa_float_denorm_mode_16_64 3
		.amdhsa_dx10_clamp 1
		.amdhsa_ieee_mode 1
		.amdhsa_fp16_overflow 0
		.amdhsa_workgroup_processor_mode 1
		.amdhsa_memory_ordered 1
		.amdhsa_forward_progress 0
		.amdhsa_shared_vgpr_count 0
		.amdhsa_exception_fp_ieee_invalid_op 0
		.amdhsa_exception_fp_denorm_src 0
		.amdhsa_exception_fp_ieee_div_zero 0
		.amdhsa_exception_fp_ieee_overflow 0
		.amdhsa_exception_fp_ieee_underflow 0
		.amdhsa_exception_fp_ieee_inexact 0
		.amdhsa_exception_int_div_zero 0
	.end_amdhsa_kernel
	.text
.Lfunc_end0:
	.size	bluestein_single_fwd_len900_dim1_dp_op_CI_CI, .Lfunc_end0-bluestein_single_fwd_len900_dim1_dp_op_CI_CI
                                        ; -- End function
	.section	.AMDGPU.csdata,"",@progbits
; Kernel info:
; codeLenInByte = 14084
; NumSgprs: 24
; NumVgprs: 245
; ScratchSize: 0
; MemoryBound: 0
; FloatMode: 240
; IeeeMode: 1
; LDSByteSize: 28800 bytes/workgroup (compile time only)
; SGPRBlocks: 2
; VGPRBlocks: 30
; NumSGPRsForWavesPerEU: 24
; NumVGPRsForWavesPerEU: 245
; Occupancy: 4
; WaveLimiterHint : 1
; COMPUTE_PGM_RSRC2:SCRATCH_EN: 0
; COMPUTE_PGM_RSRC2:USER_SGPR: 6
; COMPUTE_PGM_RSRC2:TRAP_HANDLER: 0
; COMPUTE_PGM_RSRC2:TGID_X_EN: 1
; COMPUTE_PGM_RSRC2:TGID_Y_EN: 0
; COMPUTE_PGM_RSRC2:TGID_Z_EN: 0
; COMPUTE_PGM_RSRC2:TIDIG_COMP_CNT: 0
	.text
	.p2alignl 6, 3214868480
	.fill 48, 4, 3214868480
	.type	__hip_cuid_b0520ac7d473101a,@object ; @__hip_cuid_b0520ac7d473101a
	.section	.bss,"aw",@nobits
	.globl	__hip_cuid_b0520ac7d473101a
__hip_cuid_b0520ac7d473101a:
	.byte	0                               ; 0x0
	.size	__hip_cuid_b0520ac7d473101a, 1

	.ident	"AMD clang version 19.0.0git (https://github.com/RadeonOpenCompute/llvm-project roc-6.4.0 25133 c7fe45cf4b819c5991fe208aaa96edf142730f1d)"
	.section	".note.GNU-stack","",@progbits
	.addrsig
	.addrsig_sym __hip_cuid_b0520ac7d473101a
	.amdgpu_metadata
---
amdhsa.kernels:
  - .args:
      - .actual_access:  read_only
        .address_space:  global
        .offset:         0
        .size:           8
        .value_kind:     global_buffer
      - .actual_access:  read_only
        .address_space:  global
        .offset:         8
        .size:           8
        .value_kind:     global_buffer
      - .actual_access:  read_only
        .address_space:  global
        .offset:         16
        .size:           8
        .value_kind:     global_buffer
      - .actual_access:  read_only
        .address_space:  global
        .offset:         24
        .size:           8
        .value_kind:     global_buffer
      - .actual_access:  read_only
        .address_space:  global
        .offset:         32
        .size:           8
        .value_kind:     global_buffer
      - .offset:         40
        .size:           8
        .value_kind:     by_value
      - .address_space:  global
        .offset:         48
        .size:           8
        .value_kind:     global_buffer
      - .address_space:  global
        .offset:         56
        .size:           8
        .value_kind:     global_buffer
      - .address_space:  global
        .offset:         64
        .size:           8
        .value_kind:     global_buffer
      - .address_space:  global
        .offset:         72
        .size:           8
        .value_kind:     global_buffer
      - .offset:         80
        .size:           4
        .value_kind:     by_value
      - .address_space:  global
        .offset:         88
        .size:           8
        .value_kind:     global_buffer
      - .address_space:  global
        .offset:         96
        .size:           8
        .value_kind:     global_buffer
    .group_segment_fixed_size: 28800
    .kernarg_segment_align: 8
    .kernarg_segment_size: 104
    .language:       OpenCL C
    .language_version:
      - 2
      - 0
    .max_flat_workgroup_size: 180
    .name:           bluestein_single_fwd_len900_dim1_dp_op_CI_CI
    .private_segment_fixed_size: 0
    .sgpr_count:     24
    .sgpr_spill_count: 0
    .symbol:         bluestein_single_fwd_len900_dim1_dp_op_CI_CI.kd
    .uniform_work_group_size: 1
    .uses_dynamic_stack: false
    .vgpr_count:     245
    .vgpr_spill_count: 0
    .wavefront_size: 32
    .workgroup_processor_mode: 1
amdhsa.target:   amdgcn-amd-amdhsa--gfx1030
amdhsa.version:
  - 1
  - 2
...

	.end_amdgpu_metadata
